;; amdgpu-corpus repo=ROCm/rocSPARSE kind=compiled arch=gfx906 opt=O3
	.amdgcn_target "amdgcn-amd-amdhsa--gfx906"
	.amdhsa_code_object_version 6
	.section	.text._ZN9rocsparseL16bsrsm_copy_scaleILj1024EfEEviiNS_24const_host_device_scalarIT0_EEPKS2_lPS2_lb,"axG",@progbits,_ZN9rocsparseL16bsrsm_copy_scaleILj1024EfEEviiNS_24const_host_device_scalarIT0_EEPKS2_lPS2_lb,comdat
	.globl	_ZN9rocsparseL16bsrsm_copy_scaleILj1024EfEEviiNS_24const_host_device_scalarIT0_EEPKS2_lPS2_lb ; -- Begin function _ZN9rocsparseL16bsrsm_copy_scaleILj1024EfEEviiNS_24const_host_device_scalarIT0_EEPKS2_lPS2_lb
	.p2align	8
	.type	_ZN9rocsparseL16bsrsm_copy_scaleILj1024EfEEviiNS_24const_host_device_scalarIT0_EEPKS2_lPS2_lb,@function
_ZN9rocsparseL16bsrsm_copy_scaleILj1024EfEEviiNS_24const_host_device_scalarIT0_EEPKS2_lPS2_lb: ; @_ZN9rocsparseL16bsrsm_copy_scaleILj1024EfEEviiNS_24const_host_device_scalarIT0_EEPKS2_lPS2_lb
; %bb.0:
	s_load_dword s0, s[4:5], 0x30
	s_load_dwordx8 s[8:15], s[4:5], 0x8
	s_waitcnt lgkmcnt(0)
	s_bitcmp1_b32 s0, 0
	s_cselect_b64 s[0:1], -1, 0
	s_and_b64 vcc, exec, s[0:1]
	s_cbranch_vccnz .LBB0_2
; %bb.1:
	s_load_dword s8, s[8:9], 0x0
.LBB0_2:
	s_nop 0
	s_load_dword s2, s[4:5], 0x44
	s_load_dwordx2 s[0:1], s[4:5], 0x0
	s_waitcnt lgkmcnt(0)
	s_and_b32 s2, s2, 0xffff
	s_mul_i32 s6, s6, s2
	s_cmp_gt_i32 s1, 0
	v_add_u32_e32 v0, s6, v0
	v_cmp_gt_i32_e32 vcc, s0, v0
	s_cselect_b64 s[2:3], -1, 0
	s_and_b64 s[2:3], s[2:3], vcc
	s_and_saveexec_b64 s[6:7], s[2:3]
	s_cbranch_execz .LBB0_5
; %bb.3:
	s_load_dwordx2 s[2:3], s[4:5], 0x28
	v_ashrrev_i32_e32 v3, 31, v0
	v_mul_lo_u32 v5, s13, v0
	v_mul_lo_u32 v6, s12, v3
	v_mad_u64_u32 v[1:2], s[4:5], s12, v0, 0
	s_waitcnt lgkmcnt(0)
	v_mul_lo_u32 v7, s3, v0
	v_mul_lo_u32 v8, s2, v3
	v_mad_u64_u32 v[3:4], s[2:3], s2, v0, 0
	v_add3_u32 v2, v2, v6, v5
	v_lshlrev_b64 v[0:1], 2, v[1:2]
	v_add3_u32 v4, v4, v8, v7
	v_mov_b32_e32 v2, s11
	v_add_co_u32_e32 v0, vcc, s10, v0
	v_addc_co_u32_e32 v1, vcc, v2, v1, vcc
	v_lshlrev_b64 v[2:3], 2, v[3:4]
	v_mov_b32_e32 v4, s15
	v_add_co_u32_e32 v2, vcc, s14, v2
	v_addc_co_u32_e32 v3, vcc, v4, v3, vcc
.LBB0_4:                                ; =>This Inner Loop Header: Depth=1
	global_load_dword v4, v[0:1], off
	v_add_co_u32_e32 v0, vcc, 4, v0
	v_addc_co_u32_e32 v1, vcc, 0, v1, vcc
	s_add_i32 s1, s1, -1
	s_cmp_lg_u32 s1, 0
	s_waitcnt vmcnt(0)
	v_mul_f32_e32 v4, s8, v4
	global_store_dword v[2:3], v4, off
	v_add_co_u32_e32 v2, vcc, 4, v2
	v_addc_co_u32_e32 v3, vcc, 0, v3, vcc
	s_cbranch_scc1 .LBB0_4
.LBB0_5:
	s_endpgm
	.section	.rodata,"a",@progbits
	.p2align	6, 0x0
	.amdhsa_kernel _ZN9rocsparseL16bsrsm_copy_scaleILj1024EfEEviiNS_24const_host_device_scalarIT0_EEPKS2_lPS2_lb
		.amdhsa_group_segment_fixed_size 0
		.amdhsa_private_segment_fixed_size 0
		.amdhsa_kernarg_size 312
		.amdhsa_user_sgpr_count 6
		.amdhsa_user_sgpr_private_segment_buffer 1
		.amdhsa_user_sgpr_dispatch_ptr 0
		.amdhsa_user_sgpr_queue_ptr 0
		.amdhsa_user_sgpr_kernarg_segment_ptr 1
		.amdhsa_user_sgpr_dispatch_id 0
		.amdhsa_user_sgpr_flat_scratch_init 0
		.amdhsa_user_sgpr_private_segment_size 0
		.amdhsa_uses_dynamic_stack 0
		.amdhsa_system_sgpr_private_segment_wavefront_offset 0
		.amdhsa_system_sgpr_workgroup_id_x 1
		.amdhsa_system_sgpr_workgroup_id_y 0
		.amdhsa_system_sgpr_workgroup_id_z 0
		.amdhsa_system_sgpr_workgroup_info 0
		.amdhsa_system_vgpr_workitem_id 0
		.amdhsa_next_free_vgpr 9
		.amdhsa_next_free_sgpr 16
		.amdhsa_reserve_vcc 1
		.amdhsa_reserve_flat_scratch 0
		.amdhsa_float_round_mode_32 0
		.amdhsa_float_round_mode_16_64 0
		.amdhsa_float_denorm_mode_32 3
		.amdhsa_float_denorm_mode_16_64 3
		.amdhsa_dx10_clamp 1
		.amdhsa_ieee_mode 1
		.amdhsa_fp16_overflow 0
		.amdhsa_exception_fp_ieee_invalid_op 0
		.amdhsa_exception_fp_denorm_src 0
		.amdhsa_exception_fp_ieee_div_zero 0
		.amdhsa_exception_fp_ieee_overflow 0
		.amdhsa_exception_fp_ieee_underflow 0
		.amdhsa_exception_fp_ieee_inexact 0
		.amdhsa_exception_int_div_zero 0
	.end_amdhsa_kernel
	.section	.text._ZN9rocsparseL16bsrsm_copy_scaleILj1024EfEEviiNS_24const_host_device_scalarIT0_EEPKS2_lPS2_lb,"axG",@progbits,_ZN9rocsparseL16bsrsm_copy_scaleILj1024EfEEviiNS_24const_host_device_scalarIT0_EEPKS2_lPS2_lb,comdat
.Lfunc_end0:
	.size	_ZN9rocsparseL16bsrsm_copy_scaleILj1024EfEEviiNS_24const_host_device_scalarIT0_EEPKS2_lPS2_lb, .Lfunc_end0-_ZN9rocsparseL16bsrsm_copy_scaleILj1024EfEEviiNS_24const_host_device_scalarIT0_EEPKS2_lPS2_lb
                                        ; -- End function
	.set _ZN9rocsparseL16bsrsm_copy_scaleILj1024EfEEviiNS_24const_host_device_scalarIT0_EEPKS2_lPS2_lb.num_vgpr, 9
	.set _ZN9rocsparseL16bsrsm_copy_scaleILj1024EfEEviiNS_24const_host_device_scalarIT0_EEPKS2_lPS2_lb.num_agpr, 0
	.set _ZN9rocsparseL16bsrsm_copy_scaleILj1024EfEEviiNS_24const_host_device_scalarIT0_EEPKS2_lPS2_lb.numbered_sgpr, 16
	.set _ZN9rocsparseL16bsrsm_copy_scaleILj1024EfEEviiNS_24const_host_device_scalarIT0_EEPKS2_lPS2_lb.num_named_barrier, 0
	.set _ZN9rocsparseL16bsrsm_copy_scaleILj1024EfEEviiNS_24const_host_device_scalarIT0_EEPKS2_lPS2_lb.private_seg_size, 0
	.set _ZN9rocsparseL16bsrsm_copy_scaleILj1024EfEEviiNS_24const_host_device_scalarIT0_EEPKS2_lPS2_lb.uses_vcc, 1
	.set _ZN9rocsparseL16bsrsm_copy_scaleILj1024EfEEviiNS_24const_host_device_scalarIT0_EEPKS2_lPS2_lb.uses_flat_scratch, 0
	.set _ZN9rocsparseL16bsrsm_copy_scaleILj1024EfEEviiNS_24const_host_device_scalarIT0_EEPKS2_lPS2_lb.has_dyn_sized_stack, 0
	.set _ZN9rocsparseL16bsrsm_copy_scaleILj1024EfEEviiNS_24const_host_device_scalarIT0_EEPKS2_lPS2_lb.has_recursion, 0
	.set _ZN9rocsparseL16bsrsm_copy_scaleILj1024EfEEviiNS_24const_host_device_scalarIT0_EEPKS2_lPS2_lb.has_indirect_call, 0
	.section	.AMDGPU.csdata,"",@progbits
; Kernel info:
; codeLenInByte = 284
; TotalNumSgprs: 20
; NumVgprs: 9
; ScratchSize: 0
; MemoryBound: 0
; FloatMode: 240
; IeeeMode: 1
; LDSByteSize: 0 bytes/workgroup (compile time only)
; SGPRBlocks: 2
; VGPRBlocks: 2
; NumSGPRsForWavesPerEU: 20
; NumVGPRsForWavesPerEU: 9
; Occupancy: 10
; WaveLimiterHint : 0
; COMPUTE_PGM_RSRC2:SCRATCH_EN: 0
; COMPUTE_PGM_RSRC2:USER_SGPR: 6
; COMPUTE_PGM_RSRC2:TRAP_HANDLER: 0
; COMPUTE_PGM_RSRC2:TGID_X_EN: 1
; COMPUTE_PGM_RSRC2:TGID_Y_EN: 0
; COMPUTE_PGM_RSRC2:TGID_Z_EN: 0
; COMPUTE_PGM_RSRC2:TIDIG_COMP_CNT: 0
	.section	.text._ZN9rocsparseL10bsr_gatherILj4ELj64ELj2EifEEv20rocsparse_direction_T2_PKS2_PKT3_PS5_S2_,"axG",@progbits,_ZN9rocsparseL10bsr_gatherILj4ELj64ELj2EifEEv20rocsparse_direction_T2_PKS2_PKT3_PS5_S2_,comdat
	.globl	_ZN9rocsparseL10bsr_gatherILj4ELj64ELj2EifEEv20rocsparse_direction_T2_PKS2_PKT3_PS5_S2_ ; -- Begin function _ZN9rocsparseL10bsr_gatherILj4ELj64ELj2EifEEv20rocsparse_direction_T2_PKS2_PKT3_PS5_S2_
	.p2align	8
	.type	_ZN9rocsparseL10bsr_gatherILj4ELj64ELj2EifEEv20rocsparse_direction_T2_PKS2_PKT3_PS5_S2_,@function
_ZN9rocsparseL10bsr_gatherILj4ELj64ELj2EifEEv20rocsparse_direction_T2_PKS2_PKT3_PS5_S2_: ; @_ZN9rocsparseL10bsr_gatherILj4ELj64ELj2EifEEv20rocsparse_direction_T2_PKS2_PKT3_PS5_S2_
; %bb.0:
	s_load_dwordx2 s[8:9], s[4:5], 0x0
	v_lshl_add_u32 v2, s6, 6, v1
	s_waitcnt lgkmcnt(0)
	v_cmp_gt_i32_e32 vcc, s9, v2
	s_and_saveexec_b64 s[0:1], vcc
	s_cbranch_execz .LBB1_15
; %bb.1:
	s_load_dword s16, s[4:5], 0x20
	v_and_b32_e32 v1, 1, v0
	s_waitcnt lgkmcnt(0)
	v_cmp_gt_i32_e32 vcc, s16, v1
	s_and_b64 exec, exec, vcc
	s_cbranch_execz .LBB1_15
; %bb.2:
	s_load_dwordx4 s[0:3], s[4:5], 0x8
	s_load_dwordx2 s[6:7], s[4:5], 0x18
	v_ashrrev_i32_e32 v3, 31, v2
	v_lshlrev_b64 v[3:4], 2, v[2:3]
	v_lshrrev_b32_e32 v0, 1, v0
	s_waitcnt lgkmcnt(0)
	v_mov_b32_e32 v5, s1
	v_add_co_u32_e32 v3, vcc, s0, v3
	v_addc_co_u32_e32 v4, vcc, v5, v4, vcc
	global_load_dword v3, v[3:4], off
	v_mul_lo_u32 v4, s16, v2
	s_cmp_lg_u32 s8, 0
	v_cmp_gt_u32_e64 s[0:1], s16, v0
	s_cselect_b64 s[4:5], -1, 0
	v_add_u32_e32 v2, v4, v1
	v_mul_lo_u32 v6, s16, v2
	s_lshl_b32 s17, s16, 1
	s_mov_b64 s[8:9], 0
	s_waitcnt vmcnt(0)
	v_mul_lo_u32 v5, v3, s16
	v_add_u32_e32 v2, v5, v1
	v_mul_lo_u32 v7, s16, v2
	s_branch .LBB1_4
.LBB1_3:                                ;   in Loop: Header=BB1_4 Depth=1
	s_or_b64 exec, exec, s[10:11]
	v_add_u32_e32 v1, 2, v1
	v_cmp_le_i32_e32 vcc, s16, v1
	v_add_u32_e32 v6, s17, v6
	s_or_b64 s[8:9], vcc, s[8:9]
	v_add_u32_e32 v7, s17, v7
	s_andn2_b64 exec, exec, s[8:9]
	s_cbranch_execz .LBB1_15
.LBB1_4:                                ; =>This Loop Header: Depth=1
                                        ;     Child Loop BB1_7 Depth 2
	s_and_saveexec_b64 s[10:11], s[0:1]
	s_cbranch_execz .LBB1_3
; %bb.5:                                ;   in Loop: Header=BB1_4 Depth=1
	s_mov_b64 s[12:13], 0
	v_mov_b32_e32 v8, v0
	s_branch .LBB1_7
.LBB1_6:                                ;   in Loop: Header=BB1_7 Depth=2
	v_ashrrev_i32_e32 v3, 31, v2
	v_lshlrev_b64 v[2:3], 2, v[2:3]
	v_mov_b32_e32 v10, s7
	v_add_co_u32_e32 v2, vcc, s6, v2
	v_addc_co_u32_e32 v3, vcc, v10, v3, vcc
	v_add_u32_e32 v8, 2, v8
	v_cmp_le_i32_e32 vcc, s16, v8
	s_or_b64 s[12:13], vcc, s[12:13]
	s_waitcnt vmcnt(0)
	global_store_dword v[2:3], v9, off
	s_andn2_b64 exec, exec, s[12:13]
	s_cbranch_execz .LBB1_3
.LBB1_7:                                ;   Parent Loop BB1_4 Depth=1
                                        ; =>  This Inner Loop Header: Depth=2
	s_and_b64 vcc, exec, s[4:5]
	s_cbranch_vccz .LBB1_12
; %bb.8:                                ;   in Loop: Header=BB1_7 Depth=2
	v_add_u32_e32 v2, v7, v8
	s_cbranch_execnz .LBB1_10
.LBB1_9:                                ;   in Loop: Header=BB1_7 Depth=2
	v_add_u32_e32 v2, v8, v5
	v_mad_u64_u32 v[2:3], s[14:15], v2, s16, v[1:2]
.LBB1_10:                               ;   in Loop: Header=BB1_7 Depth=2
	v_ashrrev_i32_e32 v3, 31, v2
	v_lshlrev_b64 v[2:3], 2, v[2:3]
	v_mov_b32_e32 v9, s3
	v_add_co_u32_e32 v2, vcc, s2, v2
	v_addc_co_u32_e32 v3, vcc, v9, v3, vcc
	global_load_dword v9, v[2:3], off
	s_and_b64 vcc, exec, s[4:5]
	s_cbranch_vccz .LBB1_13
; %bb.11:                               ;   in Loop: Header=BB1_7 Depth=2
	v_add_u32_e32 v2, v8, v4
	v_mad_u64_u32 v[2:3], s[14:15], v2, s16, v[1:2]
	s_cbranch_execnz .LBB1_6
	s_branch .LBB1_14
.LBB1_12:                               ;   in Loop: Header=BB1_7 Depth=2
                                        ; implicit-def: $vgpr2
	s_branch .LBB1_9
.LBB1_13:                               ;   in Loop: Header=BB1_7 Depth=2
                                        ; implicit-def: $vgpr2
.LBB1_14:                               ;   in Loop: Header=BB1_7 Depth=2
	v_add_u32_e32 v2, v6, v8
	s_branch .LBB1_6
.LBB1_15:
	s_endpgm
	.section	.rodata,"a",@progbits
	.p2align	6, 0x0
	.amdhsa_kernel _ZN9rocsparseL10bsr_gatherILj4ELj64ELj2EifEEv20rocsparse_direction_T2_PKS2_PKT3_PS5_S2_
		.amdhsa_group_segment_fixed_size 0
		.amdhsa_private_segment_fixed_size 0
		.amdhsa_kernarg_size 36
		.amdhsa_user_sgpr_count 6
		.amdhsa_user_sgpr_private_segment_buffer 1
		.amdhsa_user_sgpr_dispatch_ptr 0
		.amdhsa_user_sgpr_queue_ptr 0
		.amdhsa_user_sgpr_kernarg_segment_ptr 1
		.amdhsa_user_sgpr_dispatch_id 0
		.amdhsa_user_sgpr_flat_scratch_init 0
		.amdhsa_user_sgpr_private_segment_size 0
		.amdhsa_uses_dynamic_stack 0
		.amdhsa_system_sgpr_private_segment_wavefront_offset 0
		.amdhsa_system_sgpr_workgroup_id_x 1
		.amdhsa_system_sgpr_workgroup_id_y 0
		.amdhsa_system_sgpr_workgroup_id_z 0
		.amdhsa_system_sgpr_workgroup_info 0
		.amdhsa_system_vgpr_workitem_id 1
		.amdhsa_next_free_vgpr 11
		.amdhsa_next_free_sgpr 18
		.amdhsa_reserve_vcc 1
		.amdhsa_reserve_flat_scratch 0
		.amdhsa_float_round_mode_32 0
		.amdhsa_float_round_mode_16_64 0
		.amdhsa_float_denorm_mode_32 3
		.amdhsa_float_denorm_mode_16_64 3
		.amdhsa_dx10_clamp 1
		.amdhsa_ieee_mode 1
		.amdhsa_fp16_overflow 0
		.amdhsa_exception_fp_ieee_invalid_op 0
		.amdhsa_exception_fp_denorm_src 0
		.amdhsa_exception_fp_ieee_div_zero 0
		.amdhsa_exception_fp_ieee_overflow 0
		.amdhsa_exception_fp_ieee_underflow 0
		.amdhsa_exception_fp_ieee_inexact 0
		.amdhsa_exception_int_div_zero 0
	.end_amdhsa_kernel
	.section	.text._ZN9rocsparseL10bsr_gatherILj4ELj64ELj2EifEEv20rocsparse_direction_T2_PKS2_PKT3_PS5_S2_,"axG",@progbits,_ZN9rocsparseL10bsr_gatherILj4ELj64ELj2EifEEv20rocsparse_direction_T2_PKS2_PKT3_PS5_S2_,comdat
.Lfunc_end1:
	.size	_ZN9rocsparseL10bsr_gatherILj4ELj64ELj2EifEEv20rocsparse_direction_T2_PKS2_PKT3_PS5_S2_, .Lfunc_end1-_ZN9rocsparseL10bsr_gatherILj4ELj64ELj2EifEEv20rocsparse_direction_T2_PKS2_PKT3_PS5_S2_
                                        ; -- End function
	.set _ZN9rocsparseL10bsr_gatherILj4ELj64ELj2EifEEv20rocsparse_direction_T2_PKS2_PKT3_PS5_S2_.num_vgpr, 11
	.set _ZN9rocsparseL10bsr_gatherILj4ELj64ELj2EifEEv20rocsparse_direction_T2_PKS2_PKT3_PS5_S2_.num_agpr, 0
	.set _ZN9rocsparseL10bsr_gatherILj4ELj64ELj2EifEEv20rocsparse_direction_T2_PKS2_PKT3_PS5_S2_.numbered_sgpr, 18
	.set _ZN9rocsparseL10bsr_gatherILj4ELj64ELj2EifEEv20rocsparse_direction_T2_PKS2_PKT3_PS5_S2_.num_named_barrier, 0
	.set _ZN9rocsparseL10bsr_gatherILj4ELj64ELj2EifEEv20rocsparse_direction_T2_PKS2_PKT3_PS5_S2_.private_seg_size, 0
	.set _ZN9rocsparseL10bsr_gatherILj4ELj64ELj2EifEEv20rocsparse_direction_T2_PKS2_PKT3_PS5_S2_.uses_vcc, 1
	.set _ZN9rocsparseL10bsr_gatherILj4ELj64ELj2EifEEv20rocsparse_direction_T2_PKS2_PKT3_PS5_S2_.uses_flat_scratch, 0
	.set _ZN9rocsparseL10bsr_gatherILj4ELj64ELj2EifEEv20rocsparse_direction_T2_PKS2_PKT3_PS5_S2_.has_dyn_sized_stack, 0
	.set _ZN9rocsparseL10bsr_gatherILj4ELj64ELj2EifEEv20rocsparse_direction_T2_PKS2_PKT3_PS5_S2_.has_recursion, 0
	.set _ZN9rocsparseL10bsr_gatherILj4ELj64ELj2EifEEv20rocsparse_direction_T2_PKS2_PKT3_PS5_S2_.has_indirect_call, 0
	.section	.AMDGPU.csdata,"",@progbits
; Kernel info:
; codeLenInByte = 400
; TotalNumSgprs: 22
; NumVgprs: 11
; ScratchSize: 0
; MemoryBound: 0
; FloatMode: 240
; IeeeMode: 1
; LDSByteSize: 0 bytes/workgroup (compile time only)
; SGPRBlocks: 2
; VGPRBlocks: 2
; NumSGPRsForWavesPerEU: 22
; NumVGPRsForWavesPerEU: 11
; Occupancy: 10
; WaveLimiterHint : 0
; COMPUTE_PGM_RSRC2:SCRATCH_EN: 0
; COMPUTE_PGM_RSRC2:USER_SGPR: 6
; COMPUTE_PGM_RSRC2:TRAP_HANDLER: 0
; COMPUTE_PGM_RSRC2:TGID_X_EN: 1
; COMPUTE_PGM_RSRC2:TGID_Y_EN: 0
; COMPUTE_PGM_RSRC2:TGID_Z_EN: 0
; COMPUTE_PGM_RSRC2:TIDIG_COMP_CNT: 1
	.section	.text._ZN9rocsparseL10bsr_gatherILj16ELj16ELj4EifEEv20rocsparse_direction_T2_PKS2_PKT3_PS5_S2_,"axG",@progbits,_ZN9rocsparseL10bsr_gatherILj16ELj16ELj4EifEEv20rocsparse_direction_T2_PKS2_PKT3_PS5_S2_,comdat
	.globl	_ZN9rocsparseL10bsr_gatherILj16ELj16ELj4EifEEv20rocsparse_direction_T2_PKS2_PKT3_PS5_S2_ ; -- Begin function _ZN9rocsparseL10bsr_gatherILj16ELj16ELj4EifEEv20rocsparse_direction_T2_PKS2_PKT3_PS5_S2_
	.p2align	8
	.type	_ZN9rocsparseL10bsr_gatherILj16ELj16ELj4EifEEv20rocsparse_direction_T2_PKS2_PKT3_PS5_S2_,@function
_ZN9rocsparseL10bsr_gatherILj16ELj16ELj4EifEEv20rocsparse_direction_T2_PKS2_PKT3_PS5_S2_: ; @_ZN9rocsparseL10bsr_gatherILj16ELj16ELj4EifEEv20rocsparse_direction_T2_PKS2_PKT3_PS5_S2_
; %bb.0:
	s_load_dwordx2 s[8:9], s[4:5], 0x0
	v_lshl_add_u32 v2, s6, 4, v1
	s_waitcnt lgkmcnt(0)
	v_cmp_gt_i32_e32 vcc, s9, v2
	s_and_saveexec_b64 s[0:1], vcc
	s_cbranch_execz .LBB2_15
; %bb.1:
	s_load_dword s16, s[4:5], 0x20
	v_and_b32_e32 v1, 3, v0
	s_waitcnt lgkmcnt(0)
	v_cmp_gt_i32_e32 vcc, s16, v1
	s_and_b64 exec, exec, vcc
	s_cbranch_execz .LBB2_15
; %bb.2:
	s_load_dwordx4 s[0:3], s[4:5], 0x8
	s_load_dwordx2 s[6:7], s[4:5], 0x18
	v_ashrrev_i32_e32 v3, 31, v2
	v_lshlrev_b64 v[3:4], 2, v[2:3]
	v_lshrrev_b32_e32 v0, 2, v0
	s_waitcnt lgkmcnt(0)
	v_mov_b32_e32 v5, s1
	v_add_co_u32_e32 v3, vcc, s0, v3
	v_addc_co_u32_e32 v4, vcc, v5, v4, vcc
	global_load_dword v3, v[3:4], off
	v_mul_lo_u32 v4, s16, v2
	s_cmp_lg_u32 s8, 0
	v_cmp_gt_u32_e64 s[0:1], s16, v0
	s_cselect_b64 s[4:5], -1, 0
	v_add_u32_e32 v2, v4, v1
	v_mul_lo_u32 v6, s16, v2
	s_lshl_b32 s17, s16, 2
	s_mov_b64 s[8:9], 0
	s_waitcnt vmcnt(0)
	v_mul_lo_u32 v5, v3, s16
	v_add_u32_e32 v2, v5, v1
	v_mul_lo_u32 v7, s16, v2
	s_branch .LBB2_4
.LBB2_3:                                ;   in Loop: Header=BB2_4 Depth=1
	s_or_b64 exec, exec, s[10:11]
	v_add_u32_e32 v1, 4, v1
	v_cmp_le_i32_e32 vcc, s16, v1
	v_add_u32_e32 v6, s17, v6
	s_or_b64 s[8:9], vcc, s[8:9]
	v_add_u32_e32 v7, s17, v7
	s_andn2_b64 exec, exec, s[8:9]
	s_cbranch_execz .LBB2_15
.LBB2_4:                                ; =>This Loop Header: Depth=1
                                        ;     Child Loop BB2_7 Depth 2
	s_and_saveexec_b64 s[10:11], s[0:1]
	s_cbranch_execz .LBB2_3
; %bb.5:                                ;   in Loop: Header=BB2_4 Depth=1
	s_mov_b64 s[12:13], 0
	v_mov_b32_e32 v8, v0
	s_branch .LBB2_7
.LBB2_6:                                ;   in Loop: Header=BB2_7 Depth=2
	v_ashrrev_i32_e32 v3, 31, v2
	v_lshlrev_b64 v[2:3], 2, v[2:3]
	v_mov_b32_e32 v10, s7
	v_add_co_u32_e32 v2, vcc, s6, v2
	v_addc_co_u32_e32 v3, vcc, v10, v3, vcc
	v_add_u32_e32 v8, 4, v8
	v_cmp_le_i32_e32 vcc, s16, v8
	s_or_b64 s[12:13], vcc, s[12:13]
	s_waitcnt vmcnt(0)
	global_store_dword v[2:3], v9, off
	s_andn2_b64 exec, exec, s[12:13]
	s_cbranch_execz .LBB2_3
.LBB2_7:                                ;   Parent Loop BB2_4 Depth=1
                                        ; =>  This Inner Loop Header: Depth=2
	s_and_b64 vcc, exec, s[4:5]
	s_cbranch_vccz .LBB2_12
; %bb.8:                                ;   in Loop: Header=BB2_7 Depth=2
	v_add_u32_e32 v2, v7, v8
	s_cbranch_execnz .LBB2_10
.LBB2_9:                                ;   in Loop: Header=BB2_7 Depth=2
	v_add_u32_e32 v2, v8, v5
	v_mad_u64_u32 v[2:3], s[14:15], v2, s16, v[1:2]
.LBB2_10:                               ;   in Loop: Header=BB2_7 Depth=2
	v_ashrrev_i32_e32 v3, 31, v2
	v_lshlrev_b64 v[2:3], 2, v[2:3]
	v_mov_b32_e32 v9, s3
	v_add_co_u32_e32 v2, vcc, s2, v2
	v_addc_co_u32_e32 v3, vcc, v9, v3, vcc
	global_load_dword v9, v[2:3], off
	s_and_b64 vcc, exec, s[4:5]
	s_cbranch_vccz .LBB2_13
; %bb.11:                               ;   in Loop: Header=BB2_7 Depth=2
	v_add_u32_e32 v2, v8, v4
	v_mad_u64_u32 v[2:3], s[14:15], v2, s16, v[1:2]
	s_cbranch_execnz .LBB2_6
	s_branch .LBB2_14
.LBB2_12:                               ;   in Loop: Header=BB2_7 Depth=2
                                        ; implicit-def: $vgpr2
	s_branch .LBB2_9
.LBB2_13:                               ;   in Loop: Header=BB2_7 Depth=2
                                        ; implicit-def: $vgpr2
.LBB2_14:                               ;   in Loop: Header=BB2_7 Depth=2
	v_add_u32_e32 v2, v6, v8
	s_branch .LBB2_6
.LBB2_15:
	s_endpgm
	.section	.rodata,"a",@progbits
	.p2align	6, 0x0
	.amdhsa_kernel _ZN9rocsparseL10bsr_gatherILj16ELj16ELj4EifEEv20rocsparse_direction_T2_PKS2_PKT3_PS5_S2_
		.amdhsa_group_segment_fixed_size 0
		.amdhsa_private_segment_fixed_size 0
		.amdhsa_kernarg_size 36
		.amdhsa_user_sgpr_count 6
		.amdhsa_user_sgpr_private_segment_buffer 1
		.amdhsa_user_sgpr_dispatch_ptr 0
		.amdhsa_user_sgpr_queue_ptr 0
		.amdhsa_user_sgpr_kernarg_segment_ptr 1
		.amdhsa_user_sgpr_dispatch_id 0
		.amdhsa_user_sgpr_flat_scratch_init 0
		.amdhsa_user_sgpr_private_segment_size 0
		.amdhsa_uses_dynamic_stack 0
		.amdhsa_system_sgpr_private_segment_wavefront_offset 0
		.amdhsa_system_sgpr_workgroup_id_x 1
		.amdhsa_system_sgpr_workgroup_id_y 0
		.amdhsa_system_sgpr_workgroup_id_z 0
		.amdhsa_system_sgpr_workgroup_info 0
		.amdhsa_system_vgpr_workitem_id 1
		.amdhsa_next_free_vgpr 11
		.amdhsa_next_free_sgpr 18
		.amdhsa_reserve_vcc 1
		.amdhsa_reserve_flat_scratch 0
		.amdhsa_float_round_mode_32 0
		.amdhsa_float_round_mode_16_64 0
		.amdhsa_float_denorm_mode_32 3
		.amdhsa_float_denorm_mode_16_64 3
		.amdhsa_dx10_clamp 1
		.amdhsa_ieee_mode 1
		.amdhsa_fp16_overflow 0
		.amdhsa_exception_fp_ieee_invalid_op 0
		.amdhsa_exception_fp_denorm_src 0
		.amdhsa_exception_fp_ieee_div_zero 0
		.amdhsa_exception_fp_ieee_overflow 0
		.amdhsa_exception_fp_ieee_underflow 0
		.amdhsa_exception_fp_ieee_inexact 0
		.amdhsa_exception_int_div_zero 0
	.end_amdhsa_kernel
	.section	.text._ZN9rocsparseL10bsr_gatherILj16ELj16ELj4EifEEv20rocsparse_direction_T2_PKS2_PKT3_PS5_S2_,"axG",@progbits,_ZN9rocsparseL10bsr_gatherILj16ELj16ELj4EifEEv20rocsparse_direction_T2_PKS2_PKT3_PS5_S2_,comdat
.Lfunc_end2:
	.size	_ZN9rocsparseL10bsr_gatherILj16ELj16ELj4EifEEv20rocsparse_direction_T2_PKS2_PKT3_PS5_S2_, .Lfunc_end2-_ZN9rocsparseL10bsr_gatherILj16ELj16ELj4EifEEv20rocsparse_direction_T2_PKS2_PKT3_PS5_S2_
                                        ; -- End function
	.set _ZN9rocsparseL10bsr_gatherILj16ELj16ELj4EifEEv20rocsparse_direction_T2_PKS2_PKT3_PS5_S2_.num_vgpr, 11
	.set _ZN9rocsparseL10bsr_gatherILj16ELj16ELj4EifEEv20rocsparse_direction_T2_PKS2_PKT3_PS5_S2_.num_agpr, 0
	.set _ZN9rocsparseL10bsr_gatherILj16ELj16ELj4EifEEv20rocsparse_direction_T2_PKS2_PKT3_PS5_S2_.numbered_sgpr, 18
	.set _ZN9rocsparseL10bsr_gatherILj16ELj16ELj4EifEEv20rocsparse_direction_T2_PKS2_PKT3_PS5_S2_.num_named_barrier, 0
	.set _ZN9rocsparseL10bsr_gatherILj16ELj16ELj4EifEEv20rocsparse_direction_T2_PKS2_PKT3_PS5_S2_.private_seg_size, 0
	.set _ZN9rocsparseL10bsr_gatherILj16ELj16ELj4EifEEv20rocsparse_direction_T2_PKS2_PKT3_PS5_S2_.uses_vcc, 1
	.set _ZN9rocsparseL10bsr_gatherILj16ELj16ELj4EifEEv20rocsparse_direction_T2_PKS2_PKT3_PS5_S2_.uses_flat_scratch, 0
	.set _ZN9rocsparseL10bsr_gatherILj16ELj16ELj4EifEEv20rocsparse_direction_T2_PKS2_PKT3_PS5_S2_.has_dyn_sized_stack, 0
	.set _ZN9rocsparseL10bsr_gatherILj16ELj16ELj4EifEEv20rocsparse_direction_T2_PKS2_PKT3_PS5_S2_.has_recursion, 0
	.set _ZN9rocsparseL10bsr_gatherILj16ELj16ELj4EifEEv20rocsparse_direction_T2_PKS2_PKT3_PS5_S2_.has_indirect_call, 0
	.section	.AMDGPU.csdata,"",@progbits
; Kernel info:
; codeLenInByte = 400
; TotalNumSgprs: 22
; NumVgprs: 11
; ScratchSize: 0
; MemoryBound: 0
; FloatMode: 240
; IeeeMode: 1
; LDSByteSize: 0 bytes/workgroup (compile time only)
; SGPRBlocks: 2
; VGPRBlocks: 2
; NumSGPRsForWavesPerEU: 22
; NumVGPRsForWavesPerEU: 11
; Occupancy: 10
; WaveLimiterHint : 0
; COMPUTE_PGM_RSRC2:SCRATCH_EN: 0
; COMPUTE_PGM_RSRC2:USER_SGPR: 6
; COMPUTE_PGM_RSRC2:TRAP_HANDLER: 0
; COMPUTE_PGM_RSRC2:TGID_X_EN: 1
; COMPUTE_PGM_RSRC2:TGID_Y_EN: 0
; COMPUTE_PGM_RSRC2:TGID_Z_EN: 0
; COMPUTE_PGM_RSRC2:TIDIG_COMP_CNT: 1
	.section	.text._ZN9rocsparseL10bsr_gatherILj64ELj4ELj8EifEEv20rocsparse_direction_T2_PKS2_PKT3_PS5_S2_,"axG",@progbits,_ZN9rocsparseL10bsr_gatherILj64ELj4ELj8EifEEv20rocsparse_direction_T2_PKS2_PKT3_PS5_S2_,comdat
	.globl	_ZN9rocsparseL10bsr_gatherILj64ELj4ELj8EifEEv20rocsparse_direction_T2_PKS2_PKT3_PS5_S2_ ; -- Begin function _ZN9rocsparseL10bsr_gatherILj64ELj4ELj8EifEEv20rocsparse_direction_T2_PKS2_PKT3_PS5_S2_
	.p2align	8
	.type	_ZN9rocsparseL10bsr_gatherILj64ELj4ELj8EifEEv20rocsparse_direction_T2_PKS2_PKT3_PS5_S2_,@function
_ZN9rocsparseL10bsr_gatherILj64ELj4ELj8EifEEv20rocsparse_direction_T2_PKS2_PKT3_PS5_S2_: ; @_ZN9rocsparseL10bsr_gatherILj64ELj4ELj8EifEEv20rocsparse_direction_T2_PKS2_PKT3_PS5_S2_
; %bb.0:
	s_load_dwordx2 s[8:9], s[4:5], 0x0
	v_lshl_add_u32 v2, s6, 2, v1
	s_waitcnt lgkmcnt(0)
	v_cmp_gt_i32_e32 vcc, s9, v2
	s_and_saveexec_b64 s[0:1], vcc
	s_cbranch_execz .LBB3_15
; %bb.1:
	s_load_dword s16, s[4:5], 0x20
	v_and_b32_e32 v1, 7, v0
	s_waitcnt lgkmcnt(0)
	v_cmp_gt_i32_e32 vcc, s16, v1
	s_and_b64 exec, exec, vcc
	s_cbranch_execz .LBB3_15
; %bb.2:
	s_load_dwordx4 s[0:3], s[4:5], 0x8
	s_load_dwordx2 s[6:7], s[4:5], 0x18
	v_ashrrev_i32_e32 v3, 31, v2
	v_lshlrev_b64 v[3:4], 2, v[2:3]
	v_lshrrev_b32_e32 v0, 3, v0
	s_waitcnt lgkmcnt(0)
	v_mov_b32_e32 v5, s1
	v_add_co_u32_e32 v3, vcc, s0, v3
	v_addc_co_u32_e32 v4, vcc, v5, v4, vcc
	global_load_dword v3, v[3:4], off
	v_mul_lo_u32 v4, s16, v2
	s_cmp_lg_u32 s8, 0
	v_cmp_gt_u32_e64 s[0:1], s16, v0
	s_cselect_b64 s[4:5], -1, 0
	v_add_u32_e32 v2, v4, v1
	v_mul_lo_u32 v6, s16, v2
	s_lshl_b32 s17, s16, 3
	s_mov_b64 s[8:9], 0
	s_waitcnt vmcnt(0)
	v_mul_lo_u32 v5, v3, s16
	v_add_u32_e32 v2, v5, v1
	v_mul_lo_u32 v7, s16, v2
	s_branch .LBB3_4
.LBB3_3:                                ;   in Loop: Header=BB3_4 Depth=1
	s_or_b64 exec, exec, s[10:11]
	v_add_u32_e32 v1, 8, v1
	v_cmp_le_i32_e32 vcc, s16, v1
	v_add_u32_e32 v6, s17, v6
	s_or_b64 s[8:9], vcc, s[8:9]
	v_add_u32_e32 v7, s17, v7
	s_andn2_b64 exec, exec, s[8:9]
	s_cbranch_execz .LBB3_15
.LBB3_4:                                ; =>This Loop Header: Depth=1
                                        ;     Child Loop BB3_7 Depth 2
	s_and_saveexec_b64 s[10:11], s[0:1]
	s_cbranch_execz .LBB3_3
; %bb.5:                                ;   in Loop: Header=BB3_4 Depth=1
	s_mov_b64 s[12:13], 0
	v_mov_b32_e32 v8, v0
	s_branch .LBB3_7
.LBB3_6:                                ;   in Loop: Header=BB3_7 Depth=2
	v_ashrrev_i32_e32 v3, 31, v2
	v_lshlrev_b64 v[2:3], 2, v[2:3]
	v_mov_b32_e32 v10, s7
	v_add_co_u32_e32 v2, vcc, s6, v2
	v_addc_co_u32_e32 v3, vcc, v10, v3, vcc
	v_add_u32_e32 v8, 8, v8
	v_cmp_le_i32_e32 vcc, s16, v8
	s_or_b64 s[12:13], vcc, s[12:13]
	s_waitcnt vmcnt(0)
	global_store_dword v[2:3], v9, off
	s_andn2_b64 exec, exec, s[12:13]
	s_cbranch_execz .LBB3_3
.LBB3_7:                                ;   Parent Loop BB3_4 Depth=1
                                        ; =>  This Inner Loop Header: Depth=2
	s_and_b64 vcc, exec, s[4:5]
	s_cbranch_vccz .LBB3_12
; %bb.8:                                ;   in Loop: Header=BB3_7 Depth=2
	v_add_u32_e32 v2, v7, v8
	s_cbranch_execnz .LBB3_10
.LBB3_9:                                ;   in Loop: Header=BB3_7 Depth=2
	v_add_u32_e32 v2, v8, v5
	v_mad_u64_u32 v[2:3], s[14:15], v2, s16, v[1:2]
.LBB3_10:                               ;   in Loop: Header=BB3_7 Depth=2
	v_ashrrev_i32_e32 v3, 31, v2
	v_lshlrev_b64 v[2:3], 2, v[2:3]
	v_mov_b32_e32 v9, s3
	v_add_co_u32_e32 v2, vcc, s2, v2
	v_addc_co_u32_e32 v3, vcc, v9, v3, vcc
	global_load_dword v9, v[2:3], off
	s_and_b64 vcc, exec, s[4:5]
	s_cbranch_vccz .LBB3_13
; %bb.11:                               ;   in Loop: Header=BB3_7 Depth=2
	v_add_u32_e32 v2, v8, v4
	v_mad_u64_u32 v[2:3], s[14:15], v2, s16, v[1:2]
	s_cbranch_execnz .LBB3_6
	s_branch .LBB3_14
.LBB3_12:                               ;   in Loop: Header=BB3_7 Depth=2
                                        ; implicit-def: $vgpr2
	s_branch .LBB3_9
.LBB3_13:                               ;   in Loop: Header=BB3_7 Depth=2
                                        ; implicit-def: $vgpr2
.LBB3_14:                               ;   in Loop: Header=BB3_7 Depth=2
	v_add_u32_e32 v2, v6, v8
	s_branch .LBB3_6
.LBB3_15:
	s_endpgm
	.section	.rodata,"a",@progbits
	.p2align	6, 0x0
	.amdhsa_kernel _ZN9rocsparseL10bsr_gatherILj64ELj4ELj8EifEEv20rocsparse_direction_T2_PKS2_PKT3_PS5_S2_
		.amdhsa_group_segment_fixed_size 0
		.amdhsa_private_segment_fixed_size 0
		.amdhsa_kernarg_size 36
		.amdhsa_user_sgpr_count 6
		.amdhsa_user_sgpr_private_segment_buffer 1
		.amdhsa_user_sgpr_dispatch_ptr 0
		.amdhsa_user_sgpr_queue_ptr 0
		.amdhsa_user_sgpr_kernarg_segment_ptr 1
		.amdhsa_user_sgpr_dispatch_id 0
		.amdhsa_user_sgpr_flat_scratch_init 0
		.amdhsa_user_sgpr_private_segment_size 0
		.amdhsa_uses_dynamic_stack 0
		.amdhsa_system_sgpr_private_segment_wavefront_offset 0
		.amdhsa_system_sgpr_workgroup_id_x 1
		.amdhsa_system_sgpr_workgroup_id_y 0
		.amdhsa_system_sgpr_workgroup_id_z 0
		.amdhsa_system_sgpr_workgroup_info 0
		.amdhsa_system_vgpr_workitem_id 1
		.amdhsa_next_free_vgpr 11
		.amdhsa_next_free_sgpr 18
		.amdhsa_reserve_vcc 1
		.amdhsa_reserve_flat_scratch 0
		.amdhsa_float_round_mode_32 0
		.amdhsa_float_round_mode_16_64 0
		.amdhsa_float_denorm_mode_32 3
		.amdhsa_float_denorm_mode_16_64 3
		.amdhsa_dx10_clamp 1
		.amdhsa_ieee_mode 1
		.amdhsa_fp16_overflow 0
		.amdhsa_exception_fp_ieee_invalid_op 0
		.amdhsa_exception_fp_denorm_src 0
		.amdhsa_exception_fp_ieee_div_zero 0
		.amdhsa_exception_fp_ieee_overflow 0
		.amdhsa_exception_fp_ieee_underflow 0
		.amdhsa_exception_fp_ieee_inexact 0
		.amdhsa_exception_int_div_zero 0
	.end_amdhsa_kernel
	.section	.text._ZN9rocsparseL10bsr_gatherILj64ELj4ELj8EifEEv20rocsparse_direction_T2_PKS2_PKT3_PS5_S2_,"axG",@progbits,_ZN9rocsparseL10bsr_gatherILj64ELj4ELj8EifEEv20rocsparse_direction_T2_PKS2_PKT3_PS5_S2_,comdat
.Lfunc_end3:
	.size	_ZN9rocsparseL10bsr_gatherILj64ELj4ELj8EifEEv20rocsparse_direction_T2_PKS2_PKT3_PS5_S2_, .Lfunc_end3-_ZN9rocsparseL10bsr_gatherILj64ELj4ELj8EifEEv20rocsparse_direction_T2_PKS2_PKT3_PS5_S2_
                                        ; -- End function
	.set _ZN9rocsparseL10bsr_gatherILj64ELj4ELj8EifEEv20rocsparse_direction_T2_PKS2_PKT3_PS5_S2_.num_vgpr, 11
	.set _ZN9rocsparseL10bsr_gatherILj64ELj4ELj8EifEEv20rocsparse_direction_T2_PKS2_PKT3_PS5_S2_.num_agpr, 0
	.set _ZN9rocsparseL10bsr_gatherILj64ELj4ELj8EifEEv20rocsparse_direction_T2_PKS2_PKT3_PS5_S2_.numbered_sgpr, 18
	.set _ZN9rocsparseL10bsr_gatherILj64ELj4ELj8EifEEv20rocsparse_direction_T2_PKS2_PKT3_PS5_S2_.num_named_barrier, 0
	.set _ZN9rocsparseL10bsr_gatherILj64ELj4ELj8EifEEv20rocsparse_direction_T2_PKS2_PKT3_PS5_S2_.private_seg_size, 0
	.set _ZN9rocsparseL10bsr_gatherILj64ELj4ELj8EifEEv20rocsparse_direction_T2_PKS2_PKT3_PS5_S2_.uses_vcc, 1
	.set _ZN9rocsparseL10bsr_gatherILj64ELj4ELj8EifEEv20rocsparse_direction_T2_PKS2_PKT3_PS5_S2_.uses_flat_scratch, 0
	.set _ZN9rocsparseL10bsr_gatherILj64ELj4ELj8EifEEv20rocsparse_direction_T2_PKS2_PKT3_PS5_S2_.has_dyn_sized_stack, 0
	.set _ZN9rocsparseL10bsr_gatherILj64ELj4ELj8EifEEv20rocsparse_direction_T2_PKS2_PKT3_PS5_S2_.has_recursion, 0
	.set _ZN9rocsparseL10bsr_gatherILj64ELj4ELj8EifEEv20rocsparse_direction_T2_PKS2_PKT3_PS5_S2_.has_indirect_call, 0
	.section	.AMDGPU.csdata,"",@progbits
; Kernel info:
; codeLenInByte = 400
; TotalNumSgprs: 22
; NumVgprs: 11
; ScratchSize: 0
; MemoryBound: 0
; FloatMode: 240
; IeeeMode: 1
; LDSByteSize: 0 bytes/workgroup (compile time only)
; SGPRBlocks: 2
; VGPRBlocks: 2
; NumSGPRsForWavesPerEU: 22
; NumVGPRsForWavesPerEU: 11
; Occupancy: 10
; WaveLimiterHint : 0
; COMPUTE_PGM_RSRC2:SCRATCH_EN: 0
; COMPUTE_PGM_RSRC2:USER_SGPR: 6
; COMPUTE_PGM_RSRC2:TRAP_HANDLER: 0
; COMPUTE_PGM_RSRC2:TGID_X_EN: 1
; COMPUTE_PGM_RSRC2:TGID_Y_EN: 0
; COMPUTE_PGM_RSRC2:TGID_Z_EN: 0
; COMPUTE_PGM_RSRC2:TIDIG_COMP_CNT: 1
	.section	.text._ZN9rocsparseL24bsrsm_upper_large_kernelILj256ELj16ELb1EfEEviiPKiS2_PKT2_iPS3_iPiS2_S7_21rocsparse_index_base_20rocsparse_diag_type_20rocsparse_direction_,"axG",@progbits,_ZN9rocsparseL24bsrsm_upper_large_kernelILj256ELj16ELb1EfEEviiPKiS2_PKT2_iPS3_iPiS2_S7_21rocsparse_index_base_20rocsparse_diag_type_20rocsparse_direction_,comdat
	.globl	_ZN9rocsparseL24bsrsm_upper_large_kernelILj256ELj16ELb1EfEEviiPKiS2_PKT2_iPS3_iPiS2_S7_21rocsparse_index_base_20rocsparse_diag_type_20rocsparse_direction_ ; -- Begin function _ZN9rocsparseL24bsrsm_upper_large_kernelILj256ELj16ELb1EfEEviiPKiS2_PKT2_iPS3_iPiS2_S7_21rocsparse_index_base_20rocsparse_diag_type_20rocsparse_direction_
	.p2align	8
	.type	_ZN9rocsparseL24bsrsm_upper_large_kernelILj256ELj16ELb1EfEEviiPKiS2_PKT2_iPS3_iPiS2_S7_21rocsparse_index_base_20rocsparse_diag_type_20rocsparse_direction_,@function
_ZN9rocsparseL24bsrsm_upper_large_kernelILj256ELj16ELb1EfEEviiPKiS2_PKT2_iPS3_iPiS2_S7_21rocsparse_index_base_20rocsparse_diag_type_20rocsparse_direction_: ; @_ZN9rocsparseL24bsrsm_upper_large_kernelILj256ELj16ELb1EfEEviiPKiS2_PKT2_iPS3_iPiS2_S7_21rocsparse_index_base_20rocsparse_diag_type_20rocsparse_direction_
; %bb.0:
	s_load_dwordx2 s[24:25], s[4:5], 0x0
	s_load_dwordx4 s[16:19], s[4:5], 0x8
	s_load_dwordx4 s[8:11], s[4:5], 0x38
	s_load_dwordx2 s[20:21], s[4:5], 0x48
	v_lshrrev_b32_e32 v6, 4, v0
	v_and_b32_e32 v5, 15, v0
	s_waitcnt lgkmcnt(0)
	v_cvt_f32_u32_e32 v1, s24
	s_sub_i32 s0, 0, s24
	v_rcp_iflag_f32_e32 v1, v1
	v_mul_f32_e32 v1, 0x4f7ffffe, v1
	v_cvt_u32_f32_e32 v1, v1
	v_readfirstlane_b32 s1, v1
	s_mul_i32 s0, s0, s1
	s_mul_hi_u32 s0, s1, s0
	s_add_i32 s1, s1, s0
	s_mul_hi_u32 s0, s6, s1
	s_mul_i32 s1, s0, s24
	s_sub_i32 s1, s6, s1
	s_add_i32 s2, s0, 1
	s_sub_i32 s3, s1, s24
	s_cmp_ge_u32 s1, s24
	s_cselect_b32 s0, s2, s0
	s_cselect_b32 s1, s3, s1
	s_add_i32 s2, s0, 1
	s_cmp_ge_u32 s1, s24
	s_cselect_b32 s26, s2, s0
	s_mul_i32 s33, s26, s24
	s_sub_i32 s0, s6, s33
	s_ashr_i32 s1, s0, 31
	s_lshl_b64 s[0:1], s[0:1], 2
	s_add_u32 s0, s10, s0
	s_addc_u32 s1, s11, s1
	s_load_dword s6, s[0:1], 0x0
	s_load_dwordx2 s[10:11], s[4:5], 0x18
	s_load_dword s34, s[4:5], 0x20
	s_load_dwordx2 s[22:23], s[4:5], 0x28
	s_load_dword s35, s[4:5], 0x30
	s_load_dwordx4 s[12:15], s[4:5], 0x50
	s_waitcnt lgkmcnt(0)
	s_ashr_i32 s7, s6, 31
	s_lshl_b64 s[0:1], s[6:7], 2
	s_add_u32 s0, s16, s0
	s_addc_u32 s1, s17, s1
	s_load_dwordx2 s[2:3], s[0:1], 0x0
	s_lshl_b32 s36, s26, 4
	s_not_b32 s0, s12
	v_or_b32_e32 v1, s36, v6
	v_cmp_gt_i32_e32 vcc, s25, v1
	s_waitcnt lgkmcnt(0)
	s_sub_i32 s15, s2, s12
	s_add_i32 s4, s3, s0
	s_cmp_lt_i32 s4, s15
	s_mul_i32 s7, s6, s34
	v_cmp_eq_u32_e64 s[0:1], 0, v0
	s_cbranch_scc1 .LBB4_20
; %bb.1:
	s_mul_i32 s5, s34, s4
	v_add_u32_e32 v2, s5, v5
	v_mul_lo_u32 v7, s34, v2
	v_cmp_gt_i32_e64 s[2:3], s34, v5
	s_cmp_lg_u32 s14, 0
	s_cselect_b64 s[16:17], -1, 0
	s_and_b64 s[2:3], vcc, s[2:3]
	s_mul_i32 s37, s35, s34
	s_mul_i32 s38, s34, s34
	s_lshl_b32 s39, s34, 4
	v_mov_b32_e32 v8, 0
	s_branch .LBB4_3
.LBB4_2:                                ;   in Loop: Header=BB4_3 Depth=1
                                        ; implicit-def: $vgpr7
	s_and_b64 vcc, exec, s[26:27]
	s_cbranch_vccnz .LBB4_21
.LBB4_3:                                ; =>This Loop Header: Depth=1
                                        ;     Child Loop BB4_18 Depth 2
                                        ;       Child Loop BB4_19 Depth 3
                                        ;     Child Loop BB4_9 Depth 2
                                        ;       Child Loop BB4_11 Depth 3
	s_ashr_i32 s5, s4, 31
	s_lshl_b64 s[26:27], s[4:5], 2
	s_add_u32 s26, s18, s26
	s_addc_u32 s27, s19, s27
	global_load_dword v2, v8, s[26:27]
	s_mov_b64 s[26:27], -1
	s_waitcnt vmcnt(0)
	v_readfirstlane_b32 s5, v2
	s_sub_i32 s5, s5, s12
	s_cmp_le_i32 s5, s6
	s_cbranch_scc1 .LBB4_2
; %bb.4:                                ;   in Loop: Header=BB4_3 Depth=1
	s_and_saveexec_b64 s[26:27], s[0:1]
	s_cbranch_execz .LBB4_6
; %bb.5:                                ;   in Loop: Header=BB4_3 Depth=1
	s_add_i32 s28, s5, s33
	s_ashr_i32 s29, s28, 31
	s_lshl_b64 s[28:29], s[28:29], 2
	s_add_u32 s28, s8, s28
	s_addc_u32 s29, s9, s29
	global_load_dword v2, v8, s[28:29] glc
	s_waitcnt vmcnt(0)
	v_cmp_ne_u32_e32 vcc, 0, v2
	s_cbranch_vccz .LBB4_16
.LBB4_6:                                ;   in Loop: Header=BB4_3 Depth=1
	s_or_b64 exec, exec, s[26:27]
	buffer_wbinvl1_vol
	s_barrier
	s_and_saveexec_b64 s[26:27], s[2:3]
	s_cbranch_execz .LBB4_15
; %bb.7:                                ;   in Loop: Header=BB4_3 Depth=1
	s_mul_i32 s28, s37, s5
	s_mul_i32 s40, s4, s34
	v_add_u32_e32 v9, s28, v1
	s_mov_b64 s[28:29], 0
	v_mov_b32_e32 v10, v7
	v_mov_b32_e32 v11, v5
	s_branch .LBB4_9
.LBB4_8:                                ;   in Loop: Header=BB4_9 Depth=2
	v_add_u32_e32 v2, s7, v11
	v_mad_u64_u32 v[2:3], s[30:31], v2, s35, v[1:2]
	v_mov_b32_e32 v4, s23
	v_add_u32_e32 v11, 16, v11
	v_ashrrev_i32_e32 v3, 31, v2
	v_lshlrev_b64 v[2:3], 2, v[2:3]
	v_add_u32_e32 v10, s39, v10
	v_add_co_u32_e32 v2, vcc, s22, v2
	v_addc_co_u32_e32 v3, vcc, v4, v3, vcc
	global_load_dword v4, v[2:3], off
	v_cmp_le_i32_e32 vcc, s34, v11
	s_or_b64 s[28:29], vcc, s[28:29]
	s_waitcnt vmcnt(0)
	v_sub_f32_e32 v4, v4, v12
	global_store_dword v[2:3], v4, off
	s_andn2_b64 exec, exec, s[28:29]
	s_cbranch_execz .LBB4_15
.LBB4_9:                                ;   Parent Loop BB4_3 Depth=1
                                        ; =>  This Loop Header: Depth=2
                                        ;       Child Loop BB4_11 Depth 3
	v_mov_b32_e32 v12, 0
	s_mov_b32 s41, 0
	v_mov_b32_e32 v2, v9
	s_branch .LBB4_11
.LBB4_10:                               ;   in Loop: Header=BB4_11 Depth=3
	v_ashrrev_i32_e32 v4, 31, v3
	v_lshlrev_b64 v[3:4], 2, v[3:4]
	v_mov_b32_e32 v13, s11
	v_add_co_u32_e32 v3, vcc, s10, v3
	v_addc_co_u32_e32 v4, vcc, v13, v4, vcc
	global_load_dword v13, v[3:4], off
	v_ashrrev_i32_e32 v3, 31, v2
	v_lshlrev_b64 v[3:4], 2, v[2:3]
	v_mov_b32_e32 v14, s23
	v_add_co_u32_e32 v3, vcc, s22, v3
	v_addc_co_u32_e32 v4, vcc, v14, v4, vcc
	global_load_dword v3, v[3:4], off
	s_add_i32 s41, s41, 1
	s_cmp_eq_u32 s34, s41
	v_add_u32_e32 v2, s35, v2
	s_waitcnt vmcnt(0)
	v_fmac_f32_e32 v12, v13, v3
	s_cbranch_scc1 .LBB4_8
.LBB4_11:                               ;   Parent Loop BB4_3 Depth=1
                                        ;     Parent Loop BB4_9 Depth=2
                                        ; =>    This Inner Loop Header: Depth=3
	s_and_b64 vcc, exec, s[16:17]
	s_cbranch_vccz .LBB4_13
; %bb.12:                               ;   in Loop: Header=BB4_11 Depth=3
	s_add_i32 s30, s41, s40
	s_mul_i32 s30, s30, s34
	v_add_u32_e32 v3, s30, v11
	s_cbranch_execnz .LBB4_10
	s_branch .LBB4_14
.LBB4_13:                               ;   in Loop: Header=BB4_11 Depth=3
                                        ; implicit-def: $vgpr3
.LBB4_14:                               ;   in Loop: Header=BB4_11 Depth=3
	v_add_u32_e32 v3, s41, v10
	s_branch .LBB4_10
.LBB4_15:                               ;   in Loop: Header=BB4_3 Depth=1
	s_or_b64 exec, exec, s[26:27]
	s_add_i32 s28, s4, -1
	s_cmp_le_i32 s4, s15
	v_subrev_u32_e32 v7, s38, v7
	s_cselect_b64 s[26:27], -1, 0
	s_mov_b32 s4, s28
	s_and_b64 vcc, exec, s[26:27]
	s_cbranch_vccz .LBB4_3
	s_branch .LBB4_21
.LBB4_16:                               ;   in Loop: Header=BB4_3 Depth=1
	s_mov_b32 s30, 0
	s_branch .LBB4_18
.LBB4_17:                               ;   in Loop: Header=BB4_18 Depth=2
	global_load_dword v2, v8, s[28:29] glc
	s_cmpk_lt_u32 s30, 0xf43
	s_cselect_b64 s[40:41], -1, 0
	s_cmp_lg_u64 s[40:41], 0
	s_addc_u32 s30, s30, 0
	s_waitcnt vmcnt(0)
	v_cmp_ne_u32_e32 vcc, 0, v2
	s_cbranch_vccnz .LBB4_6
.LBB4_18:                               ;   Parent Loop BB4_3 Depth=1
                                        ; =>  This Loop Header: Depth=2
                                        ;       Child Loop BB4_19 Depth 3
	s_cmp_eq_u32 s30, 0
	s_mov_b32 s31, s30
	s_cbranch_scc1 .LBB4_17
.LBB4_19:                               ;   Parent Loop BB4_3 Depth=1
                                        ;     Parent Loop BB4_18 Depth=2
                                        ; =>    This Inner Loop Header: Depth=3
	s_add_i32 s31, s31, -1
	s_cmp_eq_u32 s31, 0
	s_sleep 1
	s_cbranch_scc0 .LBB4_19
	s_branch .LBB4_17
.LBB4_20:
	s_mov_b32 s5, s24
.LBB4_21:
	s_cmp_lt_i32 s6, s24
	s_cselect_b64 s[2:3], -1, 0
	s_cmp_eq_u32 s6, s5
	s_cselect_b64 s[0:1], -1, 0
	v_cmp_gt_i32_e32 vcc, s25, v1
	s_and_b64 s[0:1], vcc, s[0:1]
	s_cmp_gt_i32 s34, 0
	s_cselect_b64 s[16:17], -1, 0
	s_and_b64 s[0:1], s[0:1], s[16:17]
	s_and_b64 s[18:19], s[0:1], s[2:3]
	s_mov_b64 s[0:1], 0
	s_and_saveexec_b64 s[16:17], s[18:19]
	s_cbranch_execz .LBB4_37
; %bb.22:
	v_add_u32_e32 v2, s7, v5
	s_cmp_eq_u32 s13, 0
	v_mul_lo_u32 v2, s35, v2
	s_cselect_b64 s[0:1], -1, 0
	s_cmp_lg_u32 s14, 0
	s_cselect_b64 s[14:15], -1, 0
	s_mul_i32 s13, s4, s34
	s_add_i32 s4, s4, 1
	s_mul_i32 s4, s34, s4
	v_add3_u32 v6, v6, v2, s36
	s_add_i32 s4, s4, -1
	v_cndmask_b32_e64 v2, 0, 1, s[0:1]
	s_lshl_b32 s28, s35, 4
	s_mul_i32 s29, s34, s4
	s_mov_b64 s[4:5], 0
	v_cmp_ne_u32_e64 s[0:1], 1, v2
	v_mov_b32_e32 v7, 0
	v_mov_b32_e32 v8, s23
	s_mov_b32 s30, s34
	s_add_i32 s31, s30, -1
	s_and_b64 vcc, exec, s[0:1]
	v_mov_b32_e32 v4, 1.0
	s_cbranch_vccnz .LBB4_24
.LBB4_23:
	s_add_i32 s18, s31, s13
	s_mul_i32 s18, s18, s34
	s_add_i32 s18, s18, s31
	s_ashr_i32 s19, s18, 31
	s_lshl_b64 s[18:19], s[18:19], 2
	s_add_u32 s18, s10, s18
	s_addc_u32 s19, s11, s19
	global_load_dword v4, v7, s[18:19]
.LBB4_24:                               ; =>This Loop Header: Depth=1
                                        ;     Child Loop BB4_29 Depth 2
	s_add_i32 s18, s31, s7
	s_mul_i32 s18, s18, s35
	v_add_u32_e32 v2, s18, v1
	v_ashrrev_i32_e32 v3, 31, v2
	v_lshlrev_b64 v[2:3], 2, v[2:3]
	v_add_co_u32_e32 v2, vcc, s22, v2
	v_addc_co_u32_e32 v3, vcc, v8, v3, vcc
	global_load_dword v9, v[2:3], off
	s_waitcnt vmcnt(1)
	v_cmp_eq_f32_e32 vcc, 0, v4
	s_cbranch_vccnz .LBB4_26
; %bb.25:                               ;   in Loop: Header=BB4_24 Depth=1
	s_waitcnt vmcnt(0)
	v_div_scale_f32 v10, s[18:19], v4, v4, v9
	v_div_scale_f32 v11, vcc, v9, v4, v9
	v_rcp_f32_e32 v12, v10
	v_fma_f32 v13, -v10, v12, 1.0
	v_fmac_f32_e32 v12, v13, v12
	v_mul_f32_e32 v13, v11, v12
	v_fma_f32 v14, -v10, v13, v11
	v_fmac_f32_e32 v13, v14, v12
	v_fma_f32 v10, -v10, v13, v11
	v_div_fmas_f32 v10, v10, v12, v13
	v_div_fixup_f32 v9, v10, v4, v9
	global_store_dword v[2:3], v9, off
	v_cmp_gt_i32_e32 vcc, s31, v5
	s_and_saveexec_b64 s[18:19], vcc
	s_cbranch_execnz .LBB4_27
	s_branch .LBB4_33
.LBB4_26:                               ;   in Loop: Header=BB4_24 Depth=1
	s_mov_b64 s[4:5], -1
	v_cmp_gt_i32_e32 vcc, s31, v5
	s_and_saveexec_b64 s[18:19], vcc
	s_cbranch_execz .LBB4_33
.LBB4_27:                               ;   in Loop: Header=BB4_24 Depth=1
	s_mov_b64 s[24:25], 0
	v_mov_b32_e32 v2, v6
	v_mov_b32_e32 v10, v5
	s_branch .LBB4_29
.LBB4_28:                               ;   in Loop: Header=BB4_29 Depth=2
	v_ashrrev_i32_e32 v4, 31, v3
	v_lshlrev_b64 v[3:4], 2, v[3:4]
	v_mov_b32_e32 v11, s11
	v_add_co_u32_e32 v3, vcc, s10, v3
	v_addc_co_u32_e32 v4, vcc, v11, v4, vcc
	global_load_dword v11, v[3:4], off
	v_ashrrev_i32_e32 v3, 31, v2
	v_lshlrev_b64 v[3:4], 2, v[2:3]
	v_mov_b32_e32 v12, s23
	v_add_co_u32_e32 v3, vcc, s22, v3
	v_addc_co_u32_e32 v4, vcc, v12, v4, vcc
	global_load_dword v12, v[3:4], off
	v_add_u32_e32 v10, 16, v10
	v_cmp_le_i32_e32 vcc, s31, v10
	s_or_b64 s[24:25], vcc, s[24:25]
	v_add_u32_e32 v2, s28, v2
	s_waitcnt vmcnt(0)
	v_fma_f32 v11, -v9, v11, v12
	global_store_dword v[3:4], v11, off
	s_andn2_b64 exec, exec, s[24:25]
	s_cbranch_execz .LBB4_33
.LBB4_29:                               ;   Parent Loop BB4_24 Depth=1
                                        ; =>  This Inner Loop Header: Depth=2
	s_and_b64 vcc, exec, s[14:15]
	s_cbranch_vccz .LBB4_31
; %bb.30:                               ;   in Loop: Header=BB4_29 Depth=2
	v_add_u32_e32 v3, s29, v10
	s_cbranch_execnz .LBB4_28
	s_branch .LBB4_32
.LBB4_31:                               ;   in Loop: Header=BB4_29 Depth=2
                                        ; implicit-def: $vgpr3
.LBB4_32:                               ;   in Loop: Header=BB4_29 Depth=2
	v_add_u32_e32 v3, s13, v10
	v_mul_lo_u32 v3, v3, s34
	v_add_u32_e32 v3, s31, v3
	s_branch .LBB4_28
.LBB4_33:                               ;   in Loop: Header=BB4_24 Depth=1
	s_or_b64 exec, exec, s[18:19]
; %bb.34:                               ;   in Loop: Header=BB4_24 Depth=1
	s_sub_i32 s29, s29, s34
	s_cmp_lt_i32 s30, 2
	s_cbranch_scc1 .LBB4_36
; %bb.35:                               ;   in Loop: Header=BB4_24 Depth=1
	s_mov_b32 s30, s31
	s_add_i32 s31, s30, -1
	s_and_b64 vcc, exec, s[0:1]
	v_mov_b32_e32 v4, 1.0
	s_cbranch_vccnz .LBB4_24
	s_branch .LBB4_23
.LBB4_36:
	s_and_b64 s[0:1], s[4:5], exec
.LBB4_37:
	s_or_b64 exec, exec, s[16:17]
	v_cmp_eq_u32_e32 vcc, 0, v0
	s_and_b64 s[2:3], vcc, s[2:3]
	s_waitcnt vmcnt(0)
	buffer_wbinvl1_vol
	s_barrier
	s_and_saveexec_b64 s[4:5], s[2:3]
	s_cbranch_execz .LBB4_41
; %bb.38:
	s_add_i32 s2, s6, s33
	s_ashr_i32 s3, s2, 31
	s_lshl_b64 s[2:3], s[2:3], 2
	s_add_u32 s2, s8, s2
	s_addc_u32 s3, s9, s3
	v_mov_b32_e32 v0, 0
	v_mov_b32_e32 v1, 1
	global_store_dword v0, v1, s[2:3]
	s_and_b64 exec, exec, s[0:1]
	s_cbranch_execz .LBB4_41
; %bb.39:
	v_mbcnt_lo_u32_b32 v0, exec_lo, 0
	v_mbcnt_hi_u32_b32 v0, exec_hi, v0
	v_cmp_eq_u32_e32 vcc, 0, v0
	s_and_b64 exec, exec, vcc
	s_cbranch_execz .LBB4_41
; %bb.40:
	s_add_i32 s0, s6, s12
	v_mov_b32_e32 v0, 0
	v_mov_b32_e32 v1, s0
	global_atomic_smin v0, v1, s[20:21]
.LBB4_41:
	s_endpgm
	.section	.rodata,"a",@progbits
	.p2align	6, 0x0
	.amdhsa_kernel _ZN9rocsparseL24bsrsm_upper_large_kernelILj256ELj16ELb1EfEEviiPKiS2_PKT2_iPS3_iPiS2_S7_21rocsparse_index_base_20rocsparse_diag_type_20rocsparse_direction_
		.amdhsa_group_segment_fixed_size 0
		.amdhsa_private_segment_fixed_size 0
		.amdhsa_kernarg_size 92
		.amdhsa_user_sgpr_count 6
		.amdhsa_user_sgpr_private_segment_buffer 1
		.amdhsa_user_sgpr_dispatch_ptr 0
		.amdhsa_user_sgpr_queue_ptr 0
		.amdhsa_user_sgpr_kernarg_segment_ptr 1
		.amdhsa_user_sgpr_dispatch_id 0
		.amdhsa_user_sgpr_flat_scratch_init 0
		.amdhsa_user_sgpr_private_segment_size 0
		.amdhsa_uses_dynamic_stack 0
		.amdhsa_system_sgpr_private_segment_wavefront_offset 0
		.amdhsa_system_sgpr_workgroup_id_x 1
		.amdhsa_system_sgpr_workgroup_id_y 0
		.amdhsa_system_sgpr_workgroup_id_z 0
		.amdhsa_system_sgpr_workgroup_info 0
		.amdhsa_system_vgpr_workitem_id 0
		.amdhsa_next_free_vgpr 15
		.amdhsa_next_free_sgpr 42
		.amdhsa_reserve_vcc 1
		.amdhsa_reserve_flat_scratch 0
		.amdhsa_float_round_mode_32 0
		.amdhsa_float_round_mode_16_64 0
		.amdhsa_float_denorm_mode_32 3
		.amdhsa_float_denorm_mode_16_64 3
		.amdhsa_dx10_clamp 1
		.amdhsa_ieee_mode 1
		.amdhsa_fp16_overflow 0
		.amdhsa_exception_fp_ieee_invalid_op 0
		.amdhsa_exception_fp_denorm_src 0
		.amdhsa_exception_fp_ieee_div_zero 0
		.amdhsa_exception_fp_ieee_overflow 0
		.amdhsa_exception_fp_ieee_underflow 0
		.amdhsa_exception_fp_ieee_inexact 0
		.amdhsa_exception_int_div_zero 0
	.end_amdhsa_kernel
	.section	.text._ZN9rocsparseL24bsrsm_upper_large_kernelILj256ELj16ELb1EfEEviiPKiS2_PKT2_iPS3_iPiS2_S7_21rocsparse_index_base_20rocsparse_diag_type_20rocsparse_direction_,"axG",@progbits,_ZN9rocsparseL24bsrsm_upper_large_kernelILj256ELj16ELb1EfEEviiPKiS2_PKT2_iPS3_iPiS2_S7_21rocsparse_index_base_20rocsparse_diag_type_20rocsparse_direction_,comdat
.Lfunc_end4:
	.size	_ZN9rocsparseL24bsrsm_upper_large_kernelILj256ELj16ELb1EfEEviiPKiS2_PKT2_iPS3_iPiS2_S7_21rocsparse_index_base_20rocsparse_diag_type_20rocsparse_direction_, .Lfunc_end4-_ZN9rocsparseL24bsrsm_upper_large_kernelILj256ELj16ELb1EfEEviiPKiS2_PKT2_iPS3_iPiS2_S7_21rocsparse_index_base_20rocsparse_diag_type_20rocsparse_direction_
                                        ; -- End function
	.set _ZN9rocsparseL24bsrsm_upper_large_kernelILj256ELj16ELb1EfEEviiPKiS2_PKT2_iPS3_iPiS2_S7_21rocsparse_index_base_20rocsparse_diag_type_20rocsparse_direction_.num_vgpr, 15
	.set _ZN9rocsparseL24bsrsm_upper_large_kernelILj256ELj16ELb1EfEEviiPKiS2_PKT2_iPS3_iPiS2_S7_21rocsparse_index_base_20rocsparse_diag_type_20rocsparse_direction_.num_agpr, 0
	.set _ZN9rocsparseL24bsrsm_upper_large_kernelILj256ELj16ELb1EfEEviiPKiS2_PKT2_iPS3_iPiS2_S7_21rocsparse_index_base_20rocsparse_diag_type_20rocsparse_direction_.numbered_sgpr, 42
	.set _ZN9rocsparseL24bsrsm_upper_large_kernelILj256ELj16ELb1EfEEviiPKiS2_PKT2_iPS3_iPiS2_S7_21rocsparse_index_base_20rocsparse_diag_type_20rocsparse_direction_.num_named_barrier, 0
	.set _ZN9rocsparseL24bsrsm_upper_large_kernelILj256ELj16ELb1EfEEviiPKiS2_PKT2_iPS3_iPiS2_S7_21rocsparse_index_base_20rocsparse_diag_type_20rocsparse_direction_.private_seg_size, 0
	.set _ZN9rocsparseL24bsrsm_upper_large_kernelILj256ELj16ELb1EfEEviiPKiS2_PKT2_iPS3_iPiS2_S7_21rocsparse_index_base_20rocsparse_diag_type_20rocsparse_direction_.uses_vcc, 1
	.set _ZN9rocsparseL24bsrsm_upper_large_kernelILj256ELj16ELb1EfEEviiPKiS2_PKT2_iPS3_iPiS2_S7_21rocsparse_index_base_20rocsparse_diag_type_20rocsparse_direction_.uses_flat_scratch, 0
	.set _ZN9rocsparseL24bsrsm_upper_large_kernelILj256ELj16ELb1EfEEviiPKiS2_PKT2_iPS3_iPiS2_S7_21rocsparse_index_base_20rocsparse_diag_type_20rocsparse_direction_.has_dyn_sized_stack, 0
	.set _ZN9rocsparseL24bsrsm_upper_large_kernelILj256ELj16ELb1EfEEviiPKiS2_PKT2_iPS3_iPiS2_S7_21rocsparse_index_base_20rocsparse_diag_type_20rocsparse_direction_.has_recursion, 0
	.set _ZN9rocsparseL24bsrsm_upper_large_kernelILj256ELj16ELb1EfEEviiPKiS2_PKT2_iPS3_iPiS2_S7_21rocsparse_index_base_20rocsparse_diag_type_20rocsparse_direction_.has_indirect_call, 0
	.section	.AMDGPU.csdata,"",@progbits
; Kernel info:
; codeLenInByte = 1532
; TotalNumSgprs: 46
; NumVgprs: 15
; ScratchSize: 0
; MemoryBound: 0
; FloatMode: 240
; IeeeMode: 1
; LDSByteSize: 0 bytes/workgroup (compile time only)
; SGPRBlocks: 5
; VGPRBlocks: 3
; NumSGPRsForWavesPerEU: 46
; NumVGPRsForWavesPerEU: 15
; Occupancy: 10
; WaveLimiterHint : 1
; COMPUTE_PGM_RSRC2:SCRATCH_EN: 0
; COMPUTE_PGM_RSRC2:USER_SGPR: 6
; COMPUTE_PGM_RSRC2:TRAP_HANDLER: 0
; COMPUTE_PGM_RSRC2:TGID_X_EN: 1
; COMPUTE_PGM_RSRC2:TGID_Y_EN: 0
; COMPUTE_PGM_RSRC2:TGID_Z_EN: 0
; COMPUTE_PGM_RSRC2:TIDIG_COMP_CNT: 0
	.section	.text._ZN9rocsparseL24bsrsm_lower_large_kernelILj256ELj16ELb1EfEEviiPKiS2_PKT2_iPS3_iPiS2_S7_21rocsparse_index_base_20rocsparse_diag_type_20rocsparse_direction_,"axG",@progbits,_ZN9rocsparseL24bsrsm_lower_large_kernelILj256ELj16ELb1EfEEviiPKiS2_PKT2_iPS3_iPiS2_S7_21rocsparse_index_base_20rocsparse_diag_type_20rocsparse_direction_,comdat
	.globl	_ZN9rocsparseL24bsrsm_lower_large_kernelILj256ELj16ELb1EfEEviiPKiS2_PKT2_iPS3_iPiS2_S7_21rocsparse_index_base_20rocsparse_diag_type_20rocsparse_direction_ ; -- Begin function _ZN9rocsparseL24bsrsm_lower_large_kernelILj256ELj16ELb1EfEEviiPKiS2_PKT2_iPS3_iPiS2_S7_21rocsparse_index_base_20rocsparse_diag_type_20rocsparse_direction_
	.p2align	8
	.type	_ZN9rocsparseL24bsrsm_lower_large_kernelILj256ELj16ELb1EfEEviiPKiS2_PKT2_iPS3_iPiS2_S7_21rocsparse_index_base_20rocsparse_diag_type_20rocsparse_direction_,@function
_ZN9rocsparseL24bsrsm_lower_large_kernelILj256ELj16ELb1EfEEviiPKiS2_PKT2_iPS3_iPiS2_S7_21rocsparse_index_base_20rocsparse_diag_type_20rocsparse_direction_: ; @_ZN9rocsparseL24bsrsm_lower_large_kernelILj256ELj16ELb1EfEEviiPKiS2_PKT2_iPS3_iPiS2_S7_21rocsparse_index_base_20rocsparse_diag_type_20rocsparse_direction_
; %bb.0:
	s_load_dwordx2 s[24:25], s[4:5], 0x0
	s_load_dwordx4 s[16:19], s[4:5], 0x8
	s_load_dwordx4 s[8:11], s[4:5], 0x38
	s_load_dwordx2 s[20:21], s[4:5], 0x48
	v_lshrrev_b32_e32 v6, 4, v0
	v_and_b32_e32 v5, 15, v0
	s_waitcnt lgkmcnt(0)
	v_cvt_f32_u32_e32 v1, s24
	s_sub_i32 s0, 0, s24
	v_rcp_iflag_f32_e32 v1, v1
	v_mul_f32_e32 v1, 0x4f7ffffe, v1
	v_cvt_u32_f32_e32 v1, v1
	v_readfirstlane_b32 s1, v1
	s_mul_i32 s0, s0, s1
	s_mul_hi_u32 s0, s1, s0
	s_add_i32 s1, s1, s0
	s_mul_hi_u32 s0, s6, s1
	s_mul_i32 s1, s0, s24
	s_sub_i32 s1, s6, s1
	s_add_i32 s2, s0, 1
	s_sub_i32 s3, s1, s24
	s_cmp_ge_u32 s1, s24
	s_cselect_b32 s0, s2, s0
	s_cselect_b32 s1, s3, s1
	s_add_i32 s2, s0, 1
	s_cmp_ge_u32 s1, s24
	s_cselect_b32 s26, s2, s0
	s_mul_i32 s33, s26, s24
	s_sub_i32 s0, s6, s33
	s_ashr_i32 s1, s0, 31
	s_lshl_b64 s[0:1], s[0:1], 2
	s_add_u32 s0, s10, s0
	s_addc_u32 s1, s11, s1
	s_load_dword s6, s[0:1], 0x0
	s_load_dwordx2 s[10:11], s[4:5], 0x18
	s_load_dword s34, s[4:5], 0x20
	s_load_dwordx2 s[22:23], s[4:5], 0x28
	s_load_dword s35, s[4:5], 0x30
	s_load_dwordx4 s[12:15], s[4:5], 0x50
	s_waitcnt lgkmcnt(0)
	s_ashr_i32 s7, s6, 31
	s_lshl_b64 s[0:1], s[6:7], 2
	s_add_u32 s0, s16, s0
	s_addc_u32 s1, s17, s1
	s_load_dwordx2 s[2:3], s[0:1], 0x0
	s_lshl_b32 s36, s26, 4
	v_or_b32_e32 v1, s36, v6
	s_mul_i32 s7, s6, s34
	v_cmp_gt_i32_e32 vcc, s25, v1
	s_waitcnt lgkmcnt(0)
	s_sub_i32 s4, s2, s12
	s_cmp_ge_i32 s2, s3
	s_mul_i32 s37, s34, s34
	v_cmp_eq_u32_e64 s[0:1], 0, v0
	s_cbranch_scc1 .LBB5_20
; %bb.1:
	s_mul_i32 s5, s34, s4
	v_add_u32_e32 v2, s5, v5
	v_mul_lo_u32 v7, s34, v2
	s_sub_i32 s15, s3, s12
	v_cmp_gt_i32_e64 s[2:3], s34, v5
	s_cmp_lg_u32 s14, 0
	s_cselect_b64 s[16:17], -1, 0
	s_and_b64 s[2:3], vcc, s[2:3]
	s_mul_i32 s38, s35, s34
	s_lshl_b32 s39, s34, 4
	v_mov_b32_e32 v8, 0
	s_branch .LBB5_3
.LBB5_2:                                ;   in Loop: Header=BB5_3 Depth=1
                                        ; implicit-def: $vgpr7
	s_and_b64 vcc, exec, s[26:27]
	s_cbranch_vccnz .LBB5_21
.LBB5_3:                                ; =>This Loop Header: Depth=1
                                        ;     Child Loop BB5_18 Depth 2
                                        ;       Child Loop BB5_19 Depth 3
                                        ;     Child Loop BB5_9 Depth 2
                                        ;       Child Loop BB5_11 Depth 3
	s_ashr_i32 s5, s4, 31
	s_lshl_b64 s[26:27], s[4:5], 2
	s_add_u32 s26, s18, s26
	s_addc_u32 s27, s19, s27
	global_load_dword v2, v8, s[26:27]
	s_mov_b64 s[26:27], -1
	s_waitcnt vmcnt(0)
	v_readfirstlane_b32 s5, v2
	s_sub_i32 s5, s5, s12
	s_cmp_ge_i32 s5, s6
	s_cbranch_scc1 .LBB5_2
; %bb.4:                                ;   in Loop: Header=BB5_3 Depth=1
	s_and_saveexec_b64 s[26:27], s[0:1]
	s_cbranch_execz .LBB5_6
; %bb.5:                                ;   in Loop: Header=BB5_3 Depth=1
	s_add_i32 s28, s5, s33
	s_ashr_i32 s29, s28, 31
	s_lshl_b64 s[28:29], s[28:29], 2
	s_add_u32 s28, s8, s28
	s_addc_u32 s29, s9, s29
	global_load_dword v2, v8, s[28:29] glc
	s_waitcnt vmcnt(0)
	v_cmp_ne_u32_e32 vcc, 0, v2
	s_cbranch_vccz .LBB5_16
.LBB5_6:                                ;   in Loop: Header=BB5_3 Depth=1
	s_or_b64 exec, exec, s[26:27]
	buffer_wbinvl1_vol
	s_barrier
	s_and_saveexec_b64 s[26:27], s[2:3]
	s_cbranch_execz .LBB5_15
; %bb.7:                                ;   in Loop: Header=BB5_3 Depth=1
	s_mul_i32 s28, s38, s5
	s_mul_i32 s40, s4, s34
	v_add_u32_e32 v9, s28, v1
	s_mov_b64 s[28:29], 0
	v_mov_b32_e32 v10, v7
	v_mov_b32_e32 v11, v5
	s_branch .LBB5_9
.LBB5_8:                                ;   in Loop: Header=BB5_9 Depth=2
	v_add_u32_e32 v2, s7, v11
	v_mad_u64_u32 v[2:3], s[30:31], v2, s35, v[1:2]
	v_mov_b32_e32 v4, s23
	v_add_u32_e32 v11, 16, v11
	v_ashrrev_i32_e32 v3, 31, v2
	v_lshlrev_b64 v[2:3], 2, v[2:3]
	v_add_u32_e32 v10, s39, v10
	v_add_co_u32_e32 v2, vcc, s22, v2
	v_addc_co_u32_e32 v3, vcc, v4, v3, vcc
	global_load_dword v4, v[2:3], off
	v_cmp_le_i32_e32 vcc, s34, v11
	s_or_b64 s[28:29], vcc, s[28:29]
	s_waitcnt vmcnt(0)
	v_sub_f32_e32 v4, v4, v12
	global_store_dword v[2:3], v4, off
	s_andn2_b64 exec, exec, s[28:29]
	s_cbranch_execz .LBB5_15
.LBB5_9:                                ;   Parent Loop BB5_3 Depth=1
                                        ; =>  This Loop Header: Depth=2
                                        ;       Child Loop BB5_11 Depth 3
	v_mov_b32_e32 v12, 0
	s_mov_b32 s41, 0
	v_mov_b32_e32 v2, v9
	s_branch .LBB5_11
.LBB5_10:                               ;   in Loop: Header=BB5_11 Depth=3
	v_ashrrev_i32_e32 v4, 31, v3
	v_lshlrev_b64 v[3:4], 2, v[3:4]
	v_mov_b32_e32 v13, s11
	v_add_co_u32_e32 v3, vcc, s10, v3
	v_addc_co_u32_e32 v4, vcc, v13, v4, vcc
	global_load_dword v13, v[3:4], off
	v_ashrrev_i32_e32 v3, 31, v2
	v_lshlrev_b64 v[3:4], 2, v[2:3]
	v_mov_b32_e32 v14, s23
	v_add_co_u32_e32 v3, vcc, s22, v3
	v_addc_co_u32_e32 v4, vcc, v14, v4, vcc
	global_load_dword v3, v[3:4], off
	s_add_i32 s41, s41, 1
	s_cmp_eq_u32 s34, s41
	v_add_u32_e32 v2, s35, v2
	s_waitcnt vmcnt(0)
	v_fmac_f32_e32 v12, v13, v3
	s_cbranch_scc1 .LBB5_8
.LBB5_11:                               ;   Parent Loop BB5_3 Depth=1
                                        ;     Parent Loop BB5_9 Depth=2
                                        ; =>    This Inner Loop Header: Depth=3
	s_and_b64 vcc, exec, s[16:17]
	s_cbranch_vccz .LBB5_13
; %bb.12:                               ;   in Loop: Header=BB5_11 Depth=3
	s_add_i32 s30, s41, s40
	s_mul_i32 s30, s30, s34
	v_add_u32_e32 v3, s30, v11
	s_cbranch_execnz .LBB5_10
	s_branch .LBB5_14
.LBB5_13:                               ;   in Loop: Header=BB5_11 Depth=3
                                        ; implicit-def: $vgpr3
.LBB5_14:                               ;   in Loop: Header=BB5_11 Depth=3
	v_add_u32_e32 v3, s41, v10
	s_branch .LBB5_10
.LBB5_15:                               ;   in Loop: Header=BB5_3 Depth=1
	s_or_b64 exec, exec, s[26:27]
	s_add_i32 s4, s4, 1
	s_cmp_ge_i32 s4, s15
	v_add_u32_e32 v7, s37, v7
	s_cselect_b64 s[26:27], -1, 0
	s_and_b64 vcc, exec, s[26:27]
	s_cbranch_vccz .LBB5_3
	s_branch .LBB5_21
.LBB5_16:                               ;   in Loop: Header=BB5_3 Depth=1
	s_mov_b32 s30, 0
	s_branch .LBB5_18
.LBB5_17:                               ;   in Loop: Header=BB5_18 Depth=2
	global_load_dword v2, v8, s[28:29] glc
	s_cmpk_lt_u32 s30, 0xf43
	s_cselect_b64 s[40:41], -1, 0
	s_cmp_lg_u64 s[40:41], 0
	s_addc_u32 s30, s30, 0
	s_waitcnt vmcnt(0)
	v_cmp_ne_u32_e32 vcc, 0, v2
	s_cbranch_vccnz .LBB5_6
.LBB5_18:                               ;   Parent Loop BB5_3 Depth=1
                                        ; =>  This Loop Header: Depth=2
                                        ;       Child Loop BB5_19 Depth 3
	s_cmp_eq_u32 s30, 0
	s_mov_b32 s31, s30
	s_cbranch_scc1 .LBB5_17
.LBB5_19:                               ;   Parent Loop BB5_3 Depth=1
                                        ;     Parent Loop BB5_18 Depth=2
                                        ; =>    This Inner Loop Header: Depth=3
	s_add_i32 s31, s31, -1
	s_cmp_eq_u32 s31, 0
	s_sleep 1
	s_cbranch_scc0 .LBB5_19
	s_branch .LBB5_17
.LBB5_20:
	s_mov_b32 s5, s24
.LBB5_21:
	s_cmp_lt_i32 s6, s24
	s_cselect_b64 s[2:3], -1, 0
	s_cmp_eq_u32 s6, s5
	s_cselect_b64 s[0:1], -1, 0
	v_cmp_gt_i32_e32 vcc, s25, v1
	s_and_b64 s[0:1], vcc, s[0:1]
	s_cmp_gt_i32 s34, 0
	s_cselect_b64 s[16:17], -1, 0
	s_and_b64 s[0:1], s[0:1], s[16:17]
	s_mov_b32 s28, 0
	s_and_b64 s[18:19], s[0:1], s[2:3]
	s_mov_b64 s[0:1], 0
	s_and_saveexec_b64 s[16:17], s[18:19]
	s_cbranch_execz .LBB5_36
; %bb.22:
	v_add_u32_e32 v2, s7, v5
	v_mul_lo_u32 v2, s35, v2
	s_cmp_eq_u32 s13, 0
	s_cselect_b64 s[0:1], -1, 0
	s_cmp_lg_u32 s14, 0
	v_add_u32_e32 v2, s35, v2
	v_add3_u32 v6, v6, v2, s36
	v_cndmask_b32_e64 v2, 0, 1, s[0:1]
	s_cselect_b64 s[14:15], -1, 0
	v_add_u32_e32 v5, 1, v5
	s_mul_i32 s13, s4, s34
	s_lshl_b32 s29, s35, 4
	s_mul_i32 s30, s4, s37
	s_add_i32 s31, s34, 1
	s_mov_b64 s[4:5], 0
	v_cmp_ne_u32_e64 s[0:1], 1, v2
	v_mov_b32_e32 v7, 0
	v_mov_b32_e32 v8, s23
	s_branch .LBB5_24
.LBB5_23:                               ;   in Loop: Header=BB5_24 Depth=1
	s_or_b64 exec, exec, s[18:19]
	s_add_i32 s28, s28, 1
	s_add_i32 s30, s30, s31
	s_cmp_eq_u32 s28, s34
	v_add_u32_e32 v6, s35, v6
	s_cbranch_scc1 .LBB5_35
.LBB5_24:                               ; =>This Loop Header: Depth=1
                                        ;     Child Loop BB5_31 Depth 2
	s_and_b64 vcc, exec, s[0:1]
	v_mov_b32_e32 v4, 1.0
	s_cbranch_vccnz .LBB5_26
; %bb.25:                               ;   in Loop: Header=BB5_24 Depth=1
	s_add_i32 s18, s28, s13
	s_mul_i32 s18, s18, s34
	s_add_i32 s18, s18, s28
	s_ashr_i32 s19, s18, 31
	s_lshl_b64 s[18:19], s[18:19], 2
	s_add_u32 s18, s10, s18
	s_addc_u32 s19, s11, s19
	global_load_dword v4, v7, s[18:19]
.LBB5_26:                               ;   in Loop: Header=BB5_24 Depth=1
	s_add_i32 s18, s28, s7
	s_mul_i32 s18, s18, s35
	v_add_u32_e32 v2, s18, v1
	v_ashrrev_i32_e32 v3, 31, v2
	v_lshlrev_b64 v[2:3], 2, v[2:3]
	v_add_co_u32_e32 v2, vcc, s22, v2
	v_addc_co_u32_e32 v3, vcc, v8, v3, vcc
	global_load_dword v9, v[2:3], off
	s_waitcnt vmcnt(1)
	v_cmp_eq_f32_e32 vcc, 0, v4
	s_cbranch_vccnz .LBB5_28
; %bb.27:                               ;   in Loop: Header=BB5_24 Depth=1
	s_waitcnt vmcnt(0)
	v_div_scale_f32 v10, s[18:19], v4, v4, v9
	v_div_scale_f32 v11, vcc, v9, v4, v9
	v_rcp_f32_e32 v12, v10
	v_fma_f32 v13, -v10, v12, 1.0
	v_fmac_f32_e32 v12, v13, v12
	v_mul_f32_e32 v13, v11, v12
	v_fma_f32 v14, -v10, v13, v11
	v_fmac_f32_e32 v13, v14, v12
	v_fma_f32 v10, -v10, v13, v11
	v_div_fmas_f32 v10, v10, v12, v13
	v_div_fixup_f32 v9, v10, v4, v9
	global_store_dword v[2:3], v9, off
	v_add_u32_e32 v10, s28, v5
	v_cmp_gt_i32_e32 vcc, s34, v10
	s_and_saveexec_b64 s[18:19], vcc
	s_cbranch_execz .LBB5_23
	s_branch .LBB5_29
.LBB5_28:                               ;   in Loop: Header=BB5_24 Depth=1
	s_mov_b64 s[4:5], -1
	v_add_u32_e32 v10, s28, v5
	v_cmp_gt_i32_e32 vcc, s34, v10
	s_and_saveexec_b64 s[18:19], vcc
	s_cbranch_execz .LBB5_23
.LBB5_29:                               ;   in Loop: Header=BB5_24 Depth=1
	s_mov_b64 s[24:25], 0
	v_mov_b32_e32 v2, v6
	v_mov_b32_e32 v11, v5
	s_branch .LBB5_31
.LBB5_30:                               ;   in Loop: Header=BB5_31 Depth=2
	v_ashrrev_i32_e32 v4, 31, v3
	v_lshlrev_b64 v[3:4], 2, v[3:4]
	v_mov_b32_e32 v12, s11
	v_add_co_u32_e32 v3, vcc, s10, v3
	v_addc_co_u32_e32 v4, vcc, v12, v4, vcc
	global_load_dword v12, v[3:4], off
	v_ashrrev_i32_e32 v3, 31, v2
	v_lshlrev_b64 v[3:4], 2, v[2:3]
	v_mov_b32_e32 v13, s23
	v_add_co_u32_e32 v3, vcc, s22, v3
	v_addc_co_u32_e32 v4, vcc, v13, v4, vcc
	global_load_dword v13, v[3:4], off
	v_add_u32_e32 v11, 16, v11
	v_add_u32_e32 v14, s28, v11
	v_cmp_le_i32_e32 vcc, s34, v14
	v_add_u32_e32 v10, 16, v10
	s_or_b64 s[24:25], vcc, s[24:25]
	v_add_u32_e32 v2, s29, v2
	s_waitcnt vmcnt(0)
	v_fma_f32 v12, -v9, v12, v13
	global_store_dword v[3:4], v12, off
	s_andn2_b64 exec, exec, s[24:25]
	s_cbranch_execz .LBB5_23
.LBB5_31:                               ;   Parent Loop BB5_24 Depth=1
                                        ; =>  This Inner Loop Header: Depth=2
	s_and_b64 vcc, exec, s[14:15]
	s_cbranch_vccz .LBB5_33
; %bb.32:                               ;   in Loop: Header=BB5_31 Depth=2
	v_add_u32_e32 v3, s30, v11
	s_cbranch_execnz .LBB5_30
	s_branch .LBB5_34
.LBB5_33:                               ;   in Loop: Header=BB5_31 Depth=2
                                        ; implicit-def: $vgpr3
.LBB5_34:                               ;   in Loop: Header=BB5_31 Depth=2
	v_add_u32_e32 v3, s13, v10
	v_mul_lo_u32 v3, v3, s34
	v_add_u32_e32 v3, s28, v3
	s_branch .LBB5_30
.LBB5_35:
	s_and_b64 s[0:1], s[4:5], exec
.LBB5_36:
	s_or_b64 exec, exec, s[16:17]
	v_cmp_eq_u32_e32 vcc, 0, v0
	s_and_b64 s[2:3], vcc, s[2:3]
	s_waitcnt vmcnt(0)
	buffer_wbinvl1_vol
	s_barrier
	s_and_saveexec_b64 s[4:5], s[2:3]
	s_cbranch_execz .LBB5_40
; %bb.37:
	s_add_i32 s2, s6, s33
	s_ashr_i32 s3, s2, 31
	s_lshl_b64 s[2:3], s[2:3], 2
	s_add_u32 s2, s8, s2
	s_addc_u32 s3, s9, s3
	v_mov_b32_e32 v0, 0
	v_mov_b32_e32 v1, 1
	global_store_dword v0, v1, s[2:3]
	s_and_b64 exec, exec, s[0:1]
	s_cbranch_execz .LBB5_40
; %bb.38:
	v_mbcnt_lo_u32_b32 v0, exec_lo, 0
	v_mbcnt_hi_u32_b32 v0, exec_hi, v0
	v_cmp_eq_u32_e32 vcc, 0, v0
	s_and_b64 exec, exec, vcc
	s_cbranch_execz .LBB5_40
; %bb.39:
	s_add_i32 s0, s6, s12
	v_mov_b32_e32 v0, 0
	v_mov_b32_e32 v1, s0
	global_atomic_smin v0, v1, s[20:21]
.LBB5_40:
	s_endpgm
	.section	.rodata,"a",@progbits
	.p2align	6, 0x0
	.amdhsa_kernel _ZN9rocsparseL24bsrsm_lower_large_kernelILj256ELj16ELb1EfEEviiPKiS2_PKT2_iPS3_iPiS2_S7_21rocsparse_index_base_20rocsparse_diag_type_20rocsparse_direction_
		.amdhsa_group_segment_fixed_size 0
		.amdhsa_private_segment_fixed_size 0
		.amdhsa_kernarg_size 92
		.amdhsa_user_sgpr_count 6
		.amdhsa_user_sgpr_private_segment_buffer 1
		.amdhsa_user_sgpr_dispatch_ptr 0
		.amdhsa_user_sgpr_queue_ptr 0
		.amdhsa_user_sgpr_kernarg_segment_ptr 1
		.amdhsa_user_sgpr_dispatch_id 0
		.amdhsa_user_sgpr_flat_scratch_init 0
		.amdhsa_user_sgpr_private_segment_size 0
		.amdhsa_uses_dynamic_stack 0
		.amdhsa_system_sgpr_private_segment_wavefront_offset 0
		.amdhsa_system_sgpr_workgroup_id_x 1
		.amdhsa_system_sgpr_workgroup_id_y 0
		.amdhsa_system_sgpr_workgroup_id_z 0
		.amdhsa_system_sgpr_workgroup_info 0
		.amdhsa_system_vgpr_workitem_id 0
		.amdhsa_next_free_vgpr 15
		.amdhsa_next_free_sgpr 42
		.amdhsa_reserve_vcc 1
		.amdhsa_reserve_flat_scratch 0
		.amdhsa_float_round_mode_32 0
		.amdhsa_float_round_mode_16_64 0
		.amdhsa_float_denorm_mode_32 3
		.amdhsa_float_denorm_mode_16_64 3
		.amdhsa_dx10_clamp 1
		.amdhsa_ieee_mode 1
		.amdhsa_fp16_overflow 0
		.amdhsa_exception_fp_ieee_invalid_op 0
		.amdhsa_exception_fp_denorm_src 0
		.amdhsa_exception_fp_ieee_div_zero 0
		.amdhsa_exception_fp_ieee_overflow 0
		.amdhsa_exception_fp_ieee_underflow 0
		.amdhsa_exception_fp_ieee_inexact 0
		.amdhsa_exception_int_div_zero 0
	.end_amdhsa_kernel
	.section	.text._ZN9rocsparseL24bsrsm_lower_large_kernelILj256ELj16ELb1EfEEviiPKiS2_PKT2_iPS3_iPiS2_S7_21rocsparse_index_base_20rocsparse_diag_type_20rocsparse_direction_,"axG",@progbits,_ZN9rocsparseL24bsrsm_lower_large_kernelILj256ELj16ELb1EfEEviiPKiS2_PKT2_iPS3_iPiS2_S7_21rocsparse_index_base_20rocsparse_diag_type_20rocsparse_direction_,comdat
.Lfunc_end5:
	.size	_ZN9rocsparseL24bsrsm_lower_large_kernelILj256ELj16ELb1EfEEviiPKiS2_PKT2_iPS3_iPiS2_S7_21rocsparse_index_base_20rocsparse_diag_type_20rocsparse_direction_, .Lfunc_end5-_ZN9rocsparseL24bsrsm_lower_large_kernelILj256ELj16ELb1EfEEviiPKiS2_PKT2_iPS3_iPiS2_S7_21rocsparse_index_base_20rocsparse_diag_type_20rocsparse_direction_
                                        ; -- End function
	.set _ZN9rocsparseL24bsrsm_lower_large_kernelILj256ELj16ELb1EfEEviiPKiS2_PKT2_iPS3_iPiS2_S7_21rocsparse_index_base_20rocsparse_diag_type_20rocsparse_direction_.num_vgpr, 15
	.set _ZN9rocsparseL24bsrsm_lower_large_kernelILj256ELj16ELb1EfEEviiPKiS2_PKT2_iPS3_iPiS2_S7_21rocsparse_index_base_20rocsparse_diag_type_20rocsparse_direction_.num_agpr, 0
	.set _ZN9rocsparseL24bsrsm_lower_large_kernelILj256ELj16ELb1EfEEviiPKiS2_PKT2_iPS3_iPiS2_S7_21rocsparse_index_base_20rocsparse_diag_type_20rocsparse_direction_.numbered_sgpr, 42
	.set _ZN9rocsparseL24bsrsm_lower_large_kernelILj256ELj16ELb1EfEEviiPKiS2_PKT2_iPS3_iPiS2_S7_21rocsparse_index_base_20rocsparse_diag_type_20rocsparse_direction_.num_named_barrier, 0
	.set _ZN9rocsparseL24bsrsm_lower_large_kernelILj256ELj16ELb1EfEEviiPKiS2_PKT2_iPS3_iPiS2_S7_21rocsparse_index_base_20rocsparse_diag_type_20rocsparse_direction_.private_seg_size, 0
	.set _ZN9rocsparseL24bsrsm_lower_large_kernelILj256ELj16ELb1EfEEviiPKiS2_PKT2_iPS3_iPiS2_S7_21rocsparse_index_base_20rocsparse_diag_type_20rocsparse_direction_.uses_vcc, 1
	.set _ZN9rocsparseL24bsrsm_lower_large_kernelILj256ELj16ELb1EfEEviiPKiS2_PKT2_iPS3_iPiS2_S7_21rocsparse_index_base_20rocsparse_diag_type_20rocsparse_direction_.uses_flat_scratch, 0
	.set _ZN9rocsparseL24bsrsm_lower_large_kernelILj256ELj16ELb1EfEEviiPKiS2_PKT2_iPS3_iPiS2_S7_21rocsparse_index_base_20rocsparse_diag_type_20rocsparse_direction_.has_dyn_sized_stack, 0
	.set _ZN9rocsparseL24bsrsm_lower_large_kernelILj256ELj16ELb1EfEEviiPKiS2_PKT2_iPS3_iPiS2_S7_21rocsparse_index_base_20rocsparse_diag_type_20rocsparse_direction_.has_recursion, 0
	.set _ZN9rocsparseL24bsrsm_lower_large_kernelILj256ELj16ELb1EfEEviiPKiS2_PKT2_iPS3_iPiS2_S7_21rocsparse_index_base_20rocsparse_diag_type_20rocsparse_direction_.has_indirect_call, 0
	.section	.AMDGPU.csdata,"",@progbits
; Kernel info:
; codeLenInByte = 1524
; TotalNumSgprs: 46
; NumVgprs: 15
; ScratchSize: 0
; MemoryBound: 0
; FloatMode: 240
; IeeeMode: 1
; LDSByteSize: 0 bytes/workgroup (compile time only)
; SGPRBlocks: 5
; VGPRBlocks: 3
; NumSGPRsForWavesPerEU: 46
; NumVGPRsForWavesPerEU: 15
; Occupancy: 10
; WaveLimiterHint : 1
; COMPUTE_PGM_RSRC2:SCRATCH_EN: 0
; COMPUTE_PGM_RSRC2:USER_SGPR: 6
; COMPUTE_PGM_RSRC2:TRAP_HANDLER: 0
; COMPUTE_PGM_RSRC2:TGID_X_EN: 1
; COMPUTE_PGM_RSRC2:TGID_Y_EN: 0
; COMPUTE_PGM_RSRC2:TGID_Z_EN: 0
; COMPUTE_PGM_RSRC2:TIDIG_COMP_CNT: 0
	.section	.text._ZN9rocsparseL24bsrsm_upper_large_kernelILj64ELj16ELb0EfEEviiPKiS2_PKT2_iPS3_iPiS2_S7_21rocsparse_index_base_20rocsparse_diag_type_20rocsparse_direction_,"axG",@progbits,_ZN9rocsparseL24bsrsm_upper_large_kernelILj64ELj16ELb0EfEEviiPKiS2_PKT2_iPS3_iPiS2_S7_21rocsparse_index_base_20rocsparse_diag_type_20rocsparse_direction_,comdat
	.globl	_ZN9rocsparseL24bsrsm_upper_large_kernelILj64ELj16ELb0EfEEviiPKiS2_PKT2_iPS3_iPiS2_S7_21rocsparse_index_base_20rocsparse_diag_type_20rocsparse_direction_ ; -- Begin function _ZN9rocsparseL24bsrsm_upper_large_kernelILj64ELj16ELb0EfEEviiPKiS2_PKT2_iPS3_iPiS2_S7_21rocsparse_index_base_20rocsparse_diag_type_20rocsparse_direction_
	.p2align	8
	.type	_ZN9rocsparseL24bsrsm_upper_large_kernelILj64ELj16ELb0EfEEviiPKiS2_PKT2_iPS3_iPiS2_S7_21rocsparse_index_base_20rocsparse_diag_type_20rocsparse_direction_,@function
_ZN9rocsparseL24bsrsm_upper_large_kernelILj64ELj16ELb0EfEEviiPKiS2_PKT2_iPS3_iPiS2_S7_21rocsparse_index_base_20rocsparse_diag_type_20rocsparse_direction_: ; @_ZN9rocsparseL24bsrsm_upper_large_kernelILj64ELj16ELb0EfEEviiPKiS2_PKT2_iPS3_iPiS2_S7_21rocsparse_index_base_20rocsparse_diag_type_20rocsparse_direction_
; %bb.0:
	s_load_dwordx2 s[24:25], s[4:5], 0x0
	s_load_dwordx4 s[16:19], s[4:5], 0x8
	s_load_dwordx4 s[8:11], s[4:5], 0x38
	s_load_dwordx2 s[20:21], s[4:5], 0x48
	v_lshrrev_b32_e32 v6, 2, v0
	v_and_b32_e32 v5, 3, v0
	s_waitcnt lgkmcnt(0)
	v_cvt_f32_u32_e32 v1, s24
	s_sub_i32 s0, 0, s24
	v_rcp_iflag_f32_e32 v1, v1
	v_mul_f32_e32 v1, 0x4f7ffffe, v1
	v_cvt_u32_f32_e32 v1, v1
	v_readfirstlane_b32 s1, v1
	s_mul_i32 s0, s0, s1
	s_mul_hi_u32 s0, s1, s0
	s_add_i32 s1, s1, s0
	s_mul_hi_u32 s0, s6, s1
	s_mul_i32 s1, s0, s24
	s_sub_i32 s1, s6, s1
	s_add_i32 s2, s0, 1
	s_sub_i32 s3, s1, s24
	s_cmp_ge_u32 s1, s24
	s_cselect_b32 s0, s2, s0
	s_cselect_b32 s1, s3, s1
	s_add_i32 s2, s0, 1
	s_cmp_ge_u32 s1, s24
	s_cselect_b32 s26, s2, s0
	s_mul_i32 s33, s26, s24
	s_sub_i32 s0, s6, s33
	s_ashr_i32 s1, s0, 31
	s_lshl_b64 s[0:1], s[0:1], 2
	s_add_u32 s0, s10, s0
	s_addc_u32 s1, s11, s1
	s_load_dword s6, s[0:1], 0x0
	s_load_dwordx2 s[10:11], s[4:5], 0x18
	s_load_dword s34, s[4:5], 0x20
	s_load_dwordx2 s[22:23], s[4:5], 0x28
	s_load_dword s35, s[4:5], 0x30
	s_load_dwordx4 s[12:15], s[4:5], 0x50
	s_waitcnt lgkmcnt(0)
	s_ashr_i32 s7, s6, 31
	s_lshl_b64 s[0:1], s[6:7], 2
	s_add_u32 s0, s16, s0
	s_addc_u32 s1, s17, s1
	s_load_dwordx2 s[2:3], s[0:1], 0x0
	s_lshl_b32 s36, s26, 4
	s_not_b32 s0, s12
	v_or_b32_e32 v1, s36, v6
	v_cmp_gt_i32_e32 vcc, s25, v1
	s_waitcnt lgkmcnt(0)
	s_sub_i32 s15, s2, s12
	s_add_i32 s4, s3, s0
	s_cmp_lt_i32 s4, s15
	s_mul_i32 s7, s6, s34
	v_cmp_eq_u32_e64 s[0:1], 0, v0
	s_cbranch_scc1 .LBB6_17
; %bb.1:
	s_mul_i32 s5, s34, s4
	v_add_u32_e32 v2, s5, v5
	v_mul_lo_u32 v7, s34, v2
	v_cmp_gt_i32_e64 s[2:3], s34, v5
	s_cmp_lg_u32 s14, 0
	s_cselect_b64 s[16:17], -1, 0
	s_and_b64 s[2:3], vcc, s[2:3]
	s_mul_i32 s37, s35, s34
	s_mul_i32 s38, s34, s34
	s_lshl_b32 s39, s34, 2
	v_mov_b32_e32 v8, 0
	s_branch .LBB6_3
.LBB6_2:                                ;   in Loop: Header=BB6_3 Depth=1
                                        ; implicit-def: $vgpr7
	s_and_b64 vcc, exec, s[26:27]
	s_cbranch_vccnz .LBB6_18
.LBB6_3:                                ; =>This Loop Header: Depth=1
                                        ;     Child Loop BB6_6 Depth 2
                                        ;     Child Loop BB6_10 Depth 2
                                        ;       Child Loop BB6_12 Depth 3
	s_ashr_i32 s5, s4, 31
	s_lshl_b64 s[26:27], s[4:5], 2
	s_add_u32 s26, s18, s26
	s_addc_u32 s27, s19, s27
	global_load_dword v2, v8, s[26:27]
	s_mov_b64 s[26:27], -1
	s_waitcnt vmcnt(0)
	v_readfirstlane_b32 s5, v2
	s_sub_i32 s5, s5, s12
	s_cmp_le_i32 s5, s6
	s_cbranch_scc1 .LBB6_2
; %bb.4:                                ;   in Loop: Header=BB6_3 Depth=1
	s_and_saveexec_b64 s[26:27], s[0:1]
	s_cbranch_execz .LBB6_7
; %bb.5:                                ;   in Loop: Header=BB6_3 Depth=1
	s_add_i32 s28, s5, s33
	s_ashr_i32 s29, s28, 31
	s_lshl_b64 s[28:29], s[28:29], 2
	s_add_u32 s28, s8, s28
	s_addc_u32 s29, s9, s29
	global_load_dword v2, v8, s[28:29] glc
	s_waitcnt vmcnt(0)
	v_cmp_ne_u32_e32 vcc, 0, v2
	s_cbranch_vccnz .LBB6_7
.LBB6_6:                                ;   Parent Loop BB6_3 Depth=1
                                        ; =>  This Inner Loop Header: Depth=2
	global_load_dword v2, v8, s[28:29] glc
	s_waitcnt vmcnt(0)
	v_cmp_eq_u32_e32 vcc, 0, v2
	s_cbranch_vccnz .LBB6_6
.LBB6_7:                                ;   in Loop: Header=BB6_3 Depth=1
	s_or_b64 exec, exec, s[26:27]
	buffer_wbinvl1_vol
	; wave barrier
	s_and_saveexec_b64 s[26:27], s[2:3]
	s_cbranch_execz .LBB6_16
; %bb.8:                                ;   in Loop: Header=BB6_3 Depth=1
	s_mul_i32 s28, s37, s5
	s_mul_i32 s40, s4, s34
	v_add_u32_e32 v9, s28, v1
	s_mov_b64 s[28:29], 0
	v_mov_b32_e32 v10, v7
	v_mov_b32_e32 v11, v5
	s_branch .LBB6_10
.LBB6_9:                                ;   in Loop: Header=BB6_10 Depth=2
	v_add_u32_e32 v2, s7, v11
	v_mad_u64_u32 v[2:3], s[30:31], v2, s35, v[1:2]
	v_mov_b32_e32 v4, s23
	v_add_u32_e32 v11, 4, v11
	v_ashrrev_i32_e32 v3, 31, v2
	v_lshlrev_b64 v[2:3], 2, v[2:3]
	v_add_u32_e32 v10, s39, v10
	v_add_co_u32_e32 v2, vcc, s22, v2
	v_addc_co_u32_e32 v3, vcc, v4, v3, vcc
	global_load_dword v4, v[2:3], off
	v_cmp_le_i32_e32 vcc, s34, v11
	s_or_b64 s[28:29], vcc, s[28:29]
	s_waitcnt vmcnt(0)
	v_sub_f32_e32 v4, v4, v12
	global_store_dword v[2:3], v4, off
	s_andn2_b64 exec, exec, s[28:29]
	s_cbranch_execz .LBB6_16
.LBB6_10:                               ;   Parent Loop BB6_3 Depth=1
                                        ; =>  This Loop Header: Depth=2
                                        ;       Child Loop BB6_12 Depth 3
	v_mov_b32_e32 v12, 0
	s_mov_b32 s41, 0
	v_mov_b32_e32 v2, v9
	s_branch .LBB6_12
.LBB6_11:                               ;   in Loop: Header=BB6_12 Depth=3
	v_ashrrev_i32_e32 v4, 31, v3
	v_lshlrev_b64 v[3:4], 2, v[3:4]
	v_mov_b32_e32 v13, s11
	v_add_co_u32_e32 v3, vcc, s10, v3
	v_addc_co_u32_e32 v4, vcc, v13, v4, vcc
	global_load_dword v13, v[3:4], off
	v_ashrrev_i32_e32 v3, 31, v2
	v_lshlrev_b64 v[3:4], 2, v[2:3]
	v_mov_b32_e32 v14, s23
	v_add_co_u32_e32 v3, vcc, s22, v3
	v_addc_co_u32_e32 v4, vcc, v14, v4, vcc
	global_load_dword v3, v[3:4], off
	s_add_i32 s41, s41, 1
	s_cmp_eq_u32 s34, s41
	v_add_u32_e32 v2, s35, v2
	s_waitcnt vmcnt(0)
	v_fmac_f32_e32 v12, v13, v3
	s_cbranch_scc1 .LBB6_9
.LBB6_12:                               ;   Parent Loop BB6_3 Depth=1
                                        ;     Parent Loop BB6_10 Depth=2
                                        ; =>    This Inner Loop Header: Depth=3
	s_and_b64 vcc, exec, s[16:17]
	s_cbranch_vccz .LBB6_14
; %bb.13:                               ;   in Loop: Header=BB6_12 Depth=3
	s_add_i32 s30, s41, s40
	s_mul_i32 s30, s30, s34
	v_add_u32_e32 v3, s30, v11
	s_cbranch_execnz .LBB6_11
	s_branch .LBB6_15
.LBB6_14:                               ;   in Loop: Header=BB6_12 Depth=3
                                        ; implicit-def: $vgpr3
.LBB6_15:                               ;   in Loop: Header=BB6_12 Depth=3
	v_add_u32_e32 v3, s41, v10
	s_branch .LBB6_11
.LBB6_16:                               ;   in Loop: Header=BB6_3 Depth=1
	s_or_b64 exec, exec, s[26:27]
	s_add_i32 s28, s4, -1
	s_cmp_le_i32 s4, s15
	v_subrev_u32_e32 v7, s38, v7
	s_cselect_b64 s[26:27], -1, 0
	s_mov_b32 s4, s28
	s_and_b64 vcc, exec, s[26:27]
	s_cbranch_vccz .LBB6_3
	s_branch .LBB6_18
.LBB6_17:
	s_mov_b32 s5, s24
.LBB6_18:
	s_cmp_lt_i32 s6, s24
	s_cselect_b64 s[2:3], -1, 0
	s_cmp_eq_u32 s6, s5
	s_cselect_b64 s[0:1], -1, 0
	v_cmp_gt_i32_e32 vcc, s25, v1
	s_and_b64 s[0:1], vcc, s[0:1]
	s_cmp_gt_i32 s34, 0
	s_cselect_b64 s[16:17], -1, 0
	s_and_b64 s[0:1], s[0:1], s[16:17]
	s_and_b64 s[18:19], s[0:1], s[2:3]
	s_mov_b64 s[0:1], 0
	s_and_saveexec_b64 s[16:17], s[18:19]
	s_cbranch_execz .LBB6_34
; %bb.19:
	v_add_u32_e32 v2, s7, v5
	s_cmp_eq_u32 s13, 0
	v_mul_lo_u32 v2, s35, v2
	s_cselect_b64 s[0:1], -1, 0
	s_cmp_lg_u32 s14, 0
	s_cselect_b64 s[14:15], -1, 0
	s_mul_i32 s13, s4, s34
	s_add_i32 s4, s4, 1
	s_mul_i32 s4, s34, s4
	v_add3_u32 v6, v6, v2, s36
	s_add_i32 s4, s4, -1
	v_cndmask_b32_e64 v2, 0, 1, s[0:1]
	s_lshl_b32 s28, s35, 2
	s_mul_i32 s29, s34, s4
	s_mov_b64 s[4:5], 0
	v_cmp_ne_u32_e64 s[0:1], 1, v2
	v_mov_b32_e32 v7, 0
	v_mov_b32_e32 v8, s23
	s_mov_b32 s30, s34
	s_add_i32 s31, s30, -1
	s_and_b64 vcc, exec, s[0:1]
	v_mov_b32_e32 v4, 1.0
	s_cbranch_vccnz .LBB6_21
.LBB6_20:
	s_add_i32 s18, s31, s13
	s_mul_i32 s18, s18, s34
	s_add_i32 s18, s18, s31
	s_ashr_i32 s19, s18, 31
	s_lshl_b64 s[18:19], s[18:19], 2
	s_add_u32 s18, s10, s18
	s_addc_u32 s19, s11, s19
	global_load_dword v4, v7, s[18:19]
.LBB6_21:                               ; =>This Loop Header: Depth=1
                                        ;     Child Loop BB6_26 Depth 2
	s_add_i32 s18, s31, s7
	s_mul_i32 s18, s18, s35
	v_add_u32_e32 v2, s18, v1
	v_ashrrev_i32_e32 v3, 31, v2
	v_lshlrev_b64 v[2:3], 2, v[2:3]
	v_add_co_u32_e32 v2, vcc, s22, v2
	v_addc_co_u32_e32 v3, vcc, v8, v3, vcc
	global_load_dword v9, v[2:3], off
	s_waitcnt vmcnt(1)
	v_cmp_eq_f32_e32 vcc, 0, v4
	s_cbranch_vccnz .LBB6_23
; %bb.22:                               ;   in Loop: Header=BB6_21 Depth=1
	s_waitcnt vmcnt(0)
	v_div_scale_f32 v10, s[18:19], v4, v4, v9
	v_div_scale_f32 v11, vcc, v9, v4, v9
	v_rcp_f32_e32 v12, v10
	v_fma_f32 v13, -v10, v12, 1.0
	v_fmac_f32_e32 v12, v13, v12
	v_mul_f32_e32 v13, v11, v12
	v_fma_f32 v14, -v10, v13, v11
	v_fmac_f32_e32 v13, v14, v12
	v_fma_f32 v10, -v10, v13, v11
	v_div_fmas_f32 v10, v10, v12, v13
	v_div_fixup_f32 v9, v10, v4, v9
	global_store_dword v[2:3], v9, off
	v_cmp_gt_i32_e32 vcc, s31, v5
	s_and_saveexec_b64 s[18:19], vcc
	s_cbranch_execnz .LBB6_24
	s_branch .LBB6_30
.LBB6_23:                               ;   in Loop: Header=BB6_21 Depth=1
	s_mov_b64 s[4:5], -1
	v_cmp_gt_i32_e32 vcc, s31, v5
	s_and_saveexec_b64 s[18:19], vcc
	s_cbranch_execz .LBB6_30
.LBB6_24:                               ;   in Loop: Header=BB6_21 Depth=1
	s_mov_b64 s[24:25], 0
	v_mov_b32_e32 v2, v6
	v_mov_b32_e32 v10, v5
	s_branch .LBB6_26
.LBB6_25:                               ;   in Loop: Header=BB6_26 Depth=2
	v_ashrrev_i32_e32 v4, 31, v3
	v_lshlrev_b64 v[3:4], 2, v[3:4]
	v_mov_b32_e32 v11, s11
	v_add_co_u32_e32 v3, vcc, s10, v3
	v_addc_co_u32_e32 v4, vcc, v11, v4, vcc
	global_load_dword v11, v[3:4], off
	v_ashrrev_i32_e32 v3, 31, v2
	v_lshlrev_b64 v[3:4], 2, v[2:3]
	v_mov_b32_e32 v12, s23
	v_add_co_u32_e32 v3, vcc, s22, v3
	v_addc_co_u32_e32 v4, vcc, v12, v4, vcc
	global_load_dword v12, v[3:4], off
	v_add_u32_e32 v10, 4, v10
	v_cmp_le_i32_e32 vcc, s31, v10
	s_or_b64 s[24:25], vcc, s[24:25]
	v_add_u32_e32 v2, s28, v2
	s_waitcnt vmcnt(0)
	v_fma_f32 v11, -v9, v11, v12
	global_store_dword v[3:4], v11, off
	s_andn2_b64 exec, exec, s[24:25]
	s_cbranch_execz .LBB6_30
.LBB6_26:                               ;   Parent Loop BB6_21 Depth=1
                                        ; =>  This Inner Loop Header: Depth=2
	s_and_b64 vcc, exec, s[14:15]
	s_cbranch_vccz .LBB6_28
; %bb.27:                               ;   in Loop: Header=BB6_26 Depth=2
	v_add_u32_e32 v3, s29, v10
	s_cbranch_execnz .LBB6_25
	s_branch .LBB6_29
.LBB6_28:                               ;   in Loop: Header=BB6_26 Depth=2
                                        ; implicit-def: $vgpr3
.LBB6_29:                               ;   in Loop: Header=BB6_26 Depth=2
	v_add_u32_e32 v3, s13, v10
	v_mul_lo_u32 v3, v3, s34
	v_add_u32_e32 v3, s31, v3
	s_branch .LBB6_25
.LBB6_30:                               ;   in Loop: Header=BB6_21 Depth=1
	s_or_b64 exec, exec, s[18:19]
; %bb.31:                               ;   in Loop: Header=BB6_21 Depth=1
	s_sub_i32 s29, s29, s34
	s_cmp_lt_i32 s30, 2
	s_cbranch_scc1 .LBB6_33
; %bb.32:                               ;   in Loop: Header=BB6_21 Depth=1
	s_mov_b32 s30, s31
	s_add_i32 s31, s30, -1
	s_and_b64 vcc, exec, s[0:1]
	v_mov_b32_e32 v4, 1.0
	s_cbranch_vccnz .LBB6_21
	s_branch .LBB6_20
.LBB6_33:
	s_and_b64 s[0:1], s[4:5], exec
.LBB6_34:
	s_or_b64 exec, exec, s[16:17]
	v_cmp_eq_u32_e32 vcc, 0, v0
	s_and_b64 s[2:3], vcc, s[2:3]
	s_waitcnt vmcnt(0)
	buffer_wbinvl1_vol
	; wave barrier
	s_and_saveexec_b64 s[4:5], s[2:3]
	s_cbranch_execz .LBB6_38
; %bb.35:
	s_add_i32 s2, s6, s33
	s_ashr_i32 s3, s2, 31
	s_lshl_b64 s[2:3], s[2:3], 2
	s_add_u32 s2, s8, s2
	s_addc_u32 s3, s9, s3
	v_mov_b32_e32 v0, 0
	v_mov_b32_e32 v1, 1
	global_store_dword v0, v1, s[2:3]
	s_and_b64 exec, exec, s[0:1]
	s_cbranch_execz .LBB6_38
; %bb.36:
	v_mbcnt_lo_u32_b32 v0, exec_lo, 0
	v_mbcnt_hi_u32_b32 v0, exec_hi, v0
	v_cmp_eq_u32_e32 vcc, 0, v0
	s_and_b64 exec, exec, vcc
	s_cbranch_execz .LBB6_38
; %bb.37:
	s_add_i32 s0, s6, s12
	v_mov_b32_e32 v0, 0
	v_mov_b32_e32 v1, s0
	global_atomic_smin v0, v1, s[20:21]
.LBB6_38:
	s_endpgm
	.section	.rodata,"a",@progbits
	.p2align	6, 0x0
	.amdhsa_kernel _ZN9rocsparseL24bsrsm_upper_large_kernelILj64ELj16ELb0EfEEviiPKiS2_PKT2_iPS3_iPiS2_S7_21rocsparse_index_base_20rocsparse_diag_type_20rocsparse_direction_
		.amdhsa_group_segment_fixed_size 0
		.amdhsa_private_segment_fixed_size 0
		.amdhsa_kernarg_size 92
		.amdhsa_user_sgpr_count 6
		.amdhsa_user_sgpr_private_segment_buffer 1
		.amdhsa_user_sgpr_dispatch_ptr 0
		.amdhsa_user_sgpr_queue_ptr 0
		.amdhsa_user_sgpr_kernarg_segment_ptr 1
		.amdhsa_user_sgpr_dispatch_id 0
		.amdhsa_user_sgpr_flat_scratch_init 0
		.amdhsa_user_sgpr_private_segment_size 0
		.amdhsa_uses_dynamic_stack 0
		.amdhsa_system_sgpr_private_segment_wavefront_offset 0
		.amdhsa_system_sgpr_workgroup_id_x 1
		.amdhsa_system_sgpr_workgroup_id_y 0
		.amdhsa_system_sgpr_workgroup_id_z 0
		.amdhsa_system_sgpr_workgroup_info 0
		.amdhsa_system_vgpr_workitem_id 0
		.amdhsa_next_free_vgpr 15
		.amdhsa_next_free_sgpr 42
		.amdhsa_reserve_vcc 1
		.amdhsa_reserve_flat_scratch 0
		.amdhsa_float_round_mode_32 0
		.amdhsa_float_round_mode_16_64 0
		.amdhsa_float_denorm_mode_32 3
		.amdhsa_float_denorm_mode_16_64 3
		.amdhsa_dx10_clamp 1
		.amdhsa_ieee_mode 1
		.amdhsa_fp16_overflow 0
		.amdhsa_exception_fp_ieee_invalid_op 0
		.amdhsa_exception_fp_denorm_src 0
		.amdhsa_exception_fp_ieee_div_zero 0
		.amdhsa_exception_fp_ieee_overflow 0
		.amdhsa_exception_fp_ieee_underflow 0
		.amdhsa_exception_fp_ieee_inexact 0
		.amdhsa_exception_int_div_zero 0
	.end_amdhsa_kernel
	.section	.text._ZN9rocsparseL24bsrsm_upper_large_kernelILj64ELj16ELb0EfEEviiPKiS2_PKT2_iPS3_iPiS2_S7_21rocsparse_index_base_20rocsparse_diag_type_20rocsparse_direction_,"axG",@progbits,_ZN9rocsparseL24bsrsm_upper_large_kernelILj64ELj16ELb0EfEEviiPKiS2_PKT2_iPS3_iPiS2_S7_21rocsparse_index_base_20rocsparse_diag_type_20rocsparse_direction_,comdat
.Lfunc_end6:
	.size	_ZN9rocsparseL24bsrsm_upper_large_kernelILj64ELj16ELb0EfEEviiPKiS2_PKT2_iPS3_iPiS2_S7_21rocsparse_index_base_20rocsparse_diag_type_20rocsparse_direction_, .Lfunc_end6-_ZN9rocsparseL24bsrsm_upper_large_kernelILj64ELj16ELb0EfEEviiPKiS2_PKT2_iPS3_iPiS2_S7_21rocsparse_index_base_20rocsparse_diag_type_20rocsparse_direction_
                                        ; -- End function
	.set _ZN9rocsparseL24bsrsm_upper_large_kernelILj64ELj16ELb0EfEEviiPKiS2_PKT2_iPS3_iPiS2_S7_21rocsparse_index_base_20rocsparse_diag_type_20rocsparse_direction_.num_vgpr, 15
	.set _ZN9rocsparseL24bsrsm_upper_large_kernelILj64ELj16ELb0EfEEviiPKiS2_PKT2_iPS3_iPiS2_S7_21rocsparse_index_base_20rocsparse_diag_type_20rocsparse_direction_.num_agpr, 0
	.set _ZN9rocsparseL24bsrsm_upper_large_kernelILj64ELj16ELb0EfEEviiPKiS2_PKT2_iPS3_iPiS2_S7_21rocsparse_index_base_20rocsparse_diag_type_20rocsparse_direction_.numbered_sgpr, 42
	.set _ZN9rocsparseL24bsrsm_upper_large_kernelILj64ELj16ELb0EfEEviiPKiS2_PKT2_iPS3_iPiS2_S7_21rocsparse_index_base_20rocsparse_diag_type_20rocsparse_direction_.num_named_barrier, 0
	.set _ZN9rocsparseL24bsrsm_upper_large_kernelILj64ELj16ELb0EfEEviiPKiS2_PKT2_iPS3_iPiS2_S7_21rocsparse_index_base_20rocsparse_diag_type_20rocsparse_direction_.private_seg_size, 0
	.set _ZN9rocsparseL24bsrsm_upper_large_kernelILj64ELj16ELb0EfEEviiPKiS2_PKT2_iPS3_iPiS2_S7_21rocsparse_index_base_20rocsparse_diag_type_20rocsparse_direction_.uses_vcc, 1
	.set _ZN9rocsparseL24bsrsm_upper_large_kernelILj64ELj16ELb0EfEEviiPKiS2_PKT2_iPS3_iPiS2_S7_21rocsparse_index_base_20rocsparse_diag_type_20rocsparse_direction_.uses_flat_scratch, 0
	.set _ZN9rocsparseL24bsrsm_upper_large_kernelILj64ELj16ELb0EfEEviiPKiS2_PKT2_iPS3_iPiS2_S7_21rocsparse_index_base_20rocsparse_diag_type_20rocsparse_direction_.has_dyn_sized_stack, 0
	.set _ZN9rocsparseL24bsrsm_upper_large_kernelILj64ELj16ELb0EfEEviiPKiS2_PKT2_iPS3_iPiS2_S7_21rocsparse_index_base_20rocsparse_diag_type_20rocsparse_direction_.has_recursion, 0
	.set _ZN9rocsparseL24bsrsm_upper_large_kernelILj64ELj16ELb0EfEEviiPKiS2_PKT2_iPS3_iPiS2_S7_21rocsparse_index_base_20rocsparse_diag_type_20rocsparse_direction_.has_indirect_call, 0
	.section	.AMDGPU.csdata,"",@progbits
; Kernel info:
; codeLenInByte = 1468
; TotalNumSgprs: 46
; NumVgprs: 15
; ScratchSize: 0
; MemoryBound: 0
; FloatMode: 240
; IeeeMode: 1
; LDSByteSize: 0 bytes/workgroup (compile time only)
; SGPRBlocks: 5
; VGPRBlocks: 3
; NumSGPRsForWavesPerEU: 46
; NumVGPRsForWavesPerEU: 15
; Occupancy: 10
; WaveLimiterHint : 1
; COMPUTE_PGM_RSRC2:SCRATCH_EN: 0
; COMPUTE_PGM_RSRC2:USER_SGPR: 6
; COMPUTE_PGM_RSRC2:TRAP_HANDLER: 0
; COMPUTE_PGM_RSRC2:TGID_X_EN: 1
; COMPUTE_PGM_RSRC2:TGID_Y_EN: 0
; COMPUTE_PGM_RSRC2:TGID_Z_EN: 0
; COMPUTE_PGM_RSRC2:TIDIG_COMP_CNT: 0
	.section	.text._ZN9rocsparseL24bsrsm_lower_large_kernelILj64ELj16ELb0EfEEviiPKiS2_PKT2_iPS3_iPiS2_S7_21rocsparse_index_base_20rocsparse_diag_type_20rocsparse_direction_,"axG",@progbits,_ZN9rocsparseL24bsrsm_lower_large_kernelILj64ELj16ELb0EfEEviiPKiS2_PKT2_iPS3_iPiS2_S7_21rocsparse_index_base_20rocsparse_diag_type_20rocsparse_direction_,comdat
	.globl	_ZN9rocsparseL24bsrsm_lower_large_kernelILj64ELj16ELb0EfEEviiPKiS2_PKT2_iPS3_iPiS2_S7_21rocsparse_index_base_20rocsparse_diag_type_20rocsparse_direction_ ; -- Begin function _ZN9rocsparseL24bsrsm_lower_large_kernelILj64ELj16ELb0EfEEviiPKiS2_PKT2_iPS3_iPiS2_S7_21rocsparse_index_base_20rocsparse_diag_type_20rocsparse_direction_
	.p2align	8
	.type	_ZN9rocsparseL24bsrsm_lower_large_kernelILj64ELj16ELb0EfEEviiPKiS2_PKT2_iPS3_iPiS2_S7_21rocsparse_index_base_20rocsparse_diag_type_20rocsparse_direction_,@function
_ZN9rocsparseL24bsrsm_lower_large_kernelILj64ELj16ELb0EfEEviiPKiS2_PKT2_iPS3_iPiS2_S7_21rocsparse_index_base_20rocsparse_diag_type_20rocsparse_direction_: ; @_ZN9rocsparseL24bsrsm_lower_large_kernelILj64ELj16ELb0EfEEviiPKiS2_PKT2_iPS3_iPiS2_S7_21rocsparse_index_base_20rocsparse_diag_type_20rocsparse_direction_
; %bb.0:
	s_load_dwordx2 s[24:25], s[4:5], 0x0
	s_load_dwordx4 s[16:19], s[4:5], 0x8
	s_load_dwordx4 s[8:11], s[4:5], 0x38
	s_load_dwordx2 s[20:21], s[4:5], 0x48
	v_lshrrev_b32_e32 v6, 2, v0
	v_and_b32_e32 v5, 3, v0
	s_waitcnt lgkmcnt(0)
	v_cvt_f32_u32_e32 v1, s24
	s_sub_i32 s0, 0, s24
	v_rcp_iflag_f32_e32 v1, v1
	v_mul_f32_e32 v1, 0x4f7ffffe, v1
	v_cvt_u32_f32_e32 v1, v1
	v_readfirstlane_b32 s1, v1
	s_mul_i32 s0, s0, s1
	s_mul_hi_u32 s0, s1, s0
	s_add_i32 s1, s1, s0
	s_mul_hi_u32 s0, s6, s1
	s_mul_i32 s1, s0, s24
	s_sub_i32 s1, s6, s1
	s_add_i32 s2, s0, 1
	s_sub_i32 s3, s1, s24
	s_cmp_ge_u32 s1, s24
	s_cselect_b32 s0, s2, s0
	s_cselect_b32 s1, s3, s1
	s_add_i32 s2, s0, 1
	s_cmp_ge_u32 s1, s24
	s_cselect_b32 s26, s2, s0
	s_mul_i32 s33, s26, s24
	s_sub_i32 s0, s6, s33
	s_ashr_i32 s1, s0, 31
	s_lshl_b64 s[0:1], s[0:1], 2
	s_add_u32 s0, s10, s0
	s_addc_u32 s1, s11, s1
	s_load_dword s6, s[0:1], 0x0
	s_load_dwordx2 s[10:11], s[4:5], 0x18
	s_load_dword s34, s[4:5], 0x20
	s_load_dwordx2 s[22:23], s[4:5], 0x28
	s_load_dword s35, s[4:5], 0x30
	s_load_dwordx4 s[12:15], s[4:5], 0x50
	s_waitcnt lgkmcnt(0)
	s_ashr_i32 s7, s6, 31
	s_lshl_b64 s[0:1], s[6:7], 2
	s_add_u32 s0, s16, s0
	s_addc_u32 s1, s17, s1
	s_load_dwordx2 s[2:3], s[0:1], 0x0
	s_lshl_b32 s36, s26, 4
	v_or_b32_e32 v1, s36, v6
	s_mul_i32 s7, s6, s34
	v_cmp_gt_i32_e32 vcc, s25, v1
	s_waitcnt lgkmcnt(0)
	s_sub_i32 s4, s2, s12
	s_cmp_ge_i32 s2, s3
	s_mul_i32 s37, s34, s34
	v_cmp_eq_u32_e64 s[0:1], 0, v0
	s_cbranch_scc1 .LBB7_17
; %bb.1:
	s_mul_i32 s5, s34, s4
	v_add_u32_e32 v2, s5, v5
	v_mul_lo_u32 v7, s34, v2
	s_sub_i32 s15, s3, s12
	v_cmp_gt_i32_e64 s[2:3], s34, v5
	s_cmp_lg_u32 s14, 0
	s_cselect_b64 s[16:17], -1, 0
	s_and_b64 s[2:3], vcc, s[2:3]
	s_mul_i32 s38, s35, s34
	s_lshl_b32 s39, s34, 2
	v_mov_b32_e32 v8, 0
	s_branch .LBB7_3
.LBB7_2:                                ;   in Loop: Header=BB7_3 Depth=1
                                        ; implicit-def: $vgpr7
	s_and_b64 vcc, exec, s[26:27]
	s_cbranch_vccnz .LBB7_18
.LBB7_3:                                ; =>This Loop Header: Depth=1
                                        ;     Child Loop BB7_6 Depth 2
                                        ;     Child Loop BB7_10 Depth 2
                                        ;       Child Loop BB7_12 Depth 3
	s_ashr_i32 s5, s4, 31
	s_lshl_b64 s[26:27], s[4:5], 2
	s_add_u32 s26, s18, s26
	s_addc_u32 s27, s19, s27
	global_load_dword v2, v8, s[26:27]
	s_mov_b64 s[26:27], -1
	s_waitcnt vmcnt(0)
	v_readfirstlane_b32 s5, v2
	s_sub_i32 s5, s5, s12
	s_cmp_ge_i32 s5, s6
	s_cbranch_scc1 .LBB7_2
; %bb.4:                                ;   in Loop: Header=BB7_3 Depth=1
	s_and_saveexec_b64 s[26:27], s[0:1]
	s_cbranch_execz .LBB7_7
; %bb.5:                                ;   in Loop: Header=BB7_3 Depth=1
	s_add_i32 s28, s5, s33
	s_ashr_i32 s29, s28, 31
	s_lshl_b64 s[28:29], s[28:29], 2
	s_add_u32 s28, s8, s28
	s_addc_u32 s29, s9, s29
	global_load_dword v2, v8, s[28:29] glc
	s_waitcnt vmcnt(0)
	v_cmp_ne_u32_e32 vcc, 0, v2
	s_cbranch_vccnz .LBB7_7
.LBB7_6:                                ;   Parent Loop BB7_3 Depth=1
                                        ; =>  This Inner Loop Header: Depth=2
	global_load_dword v2, v8, s[28:29] glc
	s_waitcnt vmcnt(0)
	v_cmp_eq_u32_e32 vcc, 0, v2
	s_cbranch_vccnz .LBB7_6
.LBB7_7:                                ;   in Loop: Header=BB7_3 Depth=1
	s_or_b64 exec, exec, s[26:27]
	buffer_wbinvl1_vol
	; wave barrier
	s_and_saveexec_b64 s[26:27], s[2:3]
	s_cbranch_execz .LBB7_16
; %bb.8:                                ;   in Loop: Header=BB7_3 Depth=1
	s_mul_i32 s28, s38, s5
	s_mul_i32 s40, s4, s34
	v_add_u32_e32 v9, s28, v1
	s_mov_b64 s[28:29], 0
	v_mov_b32_e32 v10, v7
	v_mov_b32_e32 v11, v5
	s_branch .LBB7_10
.LBB7_9:                                ;   in Loop: Header=BB7_10 Depth=2
	v_add_u32_e32 v2, s7, v11
	v_mad_u64_u32 v[2:3], s[30:31], v2, s35, v[1:2]
	v_mov_b32_e32 v4, s23
	v_add_u32_e32 v11, 4, v11
	v_ashrrev_i32_e32 v3, 31, v2
	v_lshlrev_b64 v[2:3], 2, v[2:3]
	v_add_u32_e32 v10, s39, v10
	v_add_co_u32_e32 v2, vcc, s22, v2
	v_addc_co_u32_e32 v3, vcc, v4, v3, vcc
	global_load_dword v4, v[2:3], off
	v_cmp_le_i32_e32 vcc, s34, v11
	s_or_b64 s[28:29], vcc, s[28:29]
	s_waitcnt vmcnt(0)
	v_sub_f32_e32 v4, v4, v12
	global_store_dword v[2:3], v4, off
	s_andn2_b64 exec, exec, s[28:29]
	s_cbranch_execz .LBB7_16
.LBB7_10:                               ;   Parent Loop BB7_3 Depth=1
                                        ; =>  This Loop Header: Depth=2
                                        ;       Child Loop BB7_12 Depth 3
	v_mov_b32_e32 v12, 0
	s_mov_b32 s41, 0
	v_mov_b32_e32 v2, v9
	s_branch .LBB7_12
.LBB7_11:                               ;   in Loop: Header=BB7_12 Depth=3
	v_ashrrev_i32_e32 v4, 31, v3
	v_lshlrev_b64 v[3:4], 2, v[3:4]
	v_mov_b32_e32 v13, s11
	v_add_co_u32_e32 v3, vcc, s10, v3
	v_addc_co_u32_e32 v4, vcc, v13, v4, vcc
	global_load_dword v13, v[3:4], off
	v_ashrrev_i32_e32 v3, 31, v2
	v_lshlrev_b64 v[3:4], 2, v[2:3]
	v_mov_b32_e32 v14, s23
	v_add_co_u32_e32 v3, vcc, s22, v3
	v_addc_co_u32_e32 v4, vcc, v14, v4, vcc
	global_load_dword v3, v[3:4], off
	s_add_i32 s41, s41, 1
	s_cmp_eq_u32 s34, s41
	v_add_u32_e32 v2, s35, v2
	s_waitcnt vmcnt(0)
	v_fmac_f32_e32 v12, v13, v3
	s_cbranch_scc1 .LBB7_9
.LBB7_12:                               ;   Parent Loop BB7_3 Depth=1
                                        ;     Parent Loop BB7_10 Depth=2
                                        ; =>    This Inner Loop Header: Depth=3
	s_and_b64 vcc, exec, s[16:17]
	s_cbranch_vccz .LBB7_14
; %bb.13:                               ;   in Loop: Header=BB7_12 Depth=3
	s_add_i32 s30, s41, s40
	s_mul_i32 s30, s30, s34
	v_add_u32_e32 v3, s30, v11
	s_cbranch_execnz .LBB7_11
	s_branch .LBB7_15
.LBB7_14:                               ;   in Loop: Header=BB7_12 Depth=3
                                        ; implicit-def: $vgpr3
.LBB7_15:                               ;   in Loop: Header=BB7_12 Depth=3
	v_add_u32_e32 v3, s41, v10
	s_branch .LBB7_11
.LBB7_16:                               ;   in Loop: Header=BB7_3 Depth=1
	s_or_b64 exec, exec, s[26:27]
	s_add_i32 s4, s4, 1
	s_cmp_ge_i32 s4, s15
	v_add_u32_e32 v7, s37, v7
	s_cselect_b64 s[26:27], -1, 0
	s_and_b64 vcc, exec, s[26:27]
	s_cbranch_vccz .LBB7_3
	s_branch .LBB7_18
.LBB7_17:
	s_mov_b32 s5, s24
.LBB7_18:
	s_cmp_lt_i32 s6, s24
	s_cselect_b64 s[2:3], -1, 0
	s_cmp_eq_u32 s6, s5
	s_cselect_b64 s[0:1], -1, 0
	v_cmp_gt_i32_e32 vcc, s25, v1
	s_and_b64 s[0:1], vcc, s[0:1]
	s_cmp_gt_i32 s34, 0
	s_cselect_b64 s[16:17], -1, 0
	s_and_b64 s[0:1], s[0:1], s[16:17]
	s_mov_b32 s28, 0
	s_and_b64 s[18:19], s[0:1], s[2:3]
	s_mov_b64 s[0:1], 0
	s_and_saveexec_b64 s[16:17], s[18:19]
	s_cbranch_execz .LBB7_33
; %bb.19:
	v_add_u32_e32 v2, s7, v5
	v_mul_lo_u32 v2, s35, v2
	s_cmp_eq_u32 s13, 0
	s_cselect_b64 s[0:1], -1, 0
	s_cmp_lg_u32 s14, 0
	v_add_u32_e32 v2, s35, v2
	v_add3_u32 v6, v6, v2, s36
	v_cndmask_b32_e64 v2, 0, 1, s[0:1]
	s_cselect_b64 s[14:15], -1, 0
	v_add_u32_e32 v5, 1, v5
	s_mul_i32 s13, s4, s34
	s_lshl_b32 s29, s35, 2
	s_mul_i32 s30, s4, s37
	s_add_i32 s31, s34, 1
	s_mov_b64 s[4:5], 0
	v_cmp_ne_u32_e64 s[0:1], 1, v2
	v_mov_b32_e32 v7, 0
	v_mov_b32_e32 v8, s23
	s_branch .LBB7_21
.LBB7_20:                               ;   in Loop: Header=BB7_21 Depth=1
	s_or_b64 exec, exec, s[18:19]
	s_add_i32 s28, s28, 1
	s_add_i32 s30, s30, s31
	s_cmp_eq_u32 s28, s34
	v_add_u32_e32 v6, s35, v6
	s_cbranch_scc1 .LBB7_32
.LBB7_21:                               ; =>This Loop Header: Depth=1
                                        ;     Child Loop BB7_28 Depth 2
	s_and_b64 vcc, exec, s[0:1]
	v_mov_b32_e32 v4, 1.0
	s_cbranch_vccnz .LBB7_23
; %bb.22:                               ;   in Loop: Header=BB7_21 Depth=1
	s_add_i32 s18, s28, s13
	s_mul_i32 s18, s18, s34
	s_add_i32 s18, s18, s28
	s_ashr_i32 s19, s18, 31
	s_lshl_b64 s[18:19], s[18:19], 2
	s_add_u32 s18, s10, s18
	s_addc_u32 s19, s11, s19
	global_load_dword v4, v7, s[18:19]
.LBB7_23:                               ;   in Loop: Header=BB7_21 Depth=1
	s_add_i32 s18, s28, s7
	s_mul_i32 s18, s18, s35
	v_add_u32_e32 v2, s18, v1
	v_ashrrev_i32_e32 v3, 31, v2
	v_lshlrev_b64 v[2:3], 2, v[2:3]
	v_add_co_u32_e32 v2, vcc, s22, v2
	v_addc_co_u32_e32 v3, vcc, v8, v3, vcc
	global_load_dword v9, v[2:3], off
	s_waitcnt vmcnt(1)
	v_cmp_eq_f32_e32 vcc, 0, v4
	s_cbranch_vccnz .LBB7_25
; %bb.24:                               ;   in Loop: Header=BB7_21 Depth=1
	s_waitcnt vmcnt(0)
	v_div_scale_f32 v10, s[18:19], v4, v4, v9
	v_div_scale_f32 v11, vcc, v9, v4, v9
	v_rcp_f32_e32 v12, v10
	v_fma_f32 v13, -v10, v12, 1.0
	v_fmac_f32_e32 v12, v13, v12
	v_mul_f32_e32 v13, v11, v12
	v_fma_f32 v14, -v10, v13, v11
	v_fmac_f32_e32 v13, v14, v12
	v_fma_f32 v10, -v10, v13, v11
	v_div_fmas_f32 v10, v10, v12, v13
	v_div_fixup_f32 v9, v10, v4, v9
	global_store_dword v[2:3], v9, off
	v_add_u32_e32 v10, s28, v5
	v_cmp_gt_i32_e32 vcc, s34, v10
	s_and_saveexec_b64 s[18:19], vcc
	s_cbranch_execz .LBB7_20
	s_branch .LBB7_26
.LBB7_25:                               ;   in Loop: Header=BB7_21 Depth=1
	s_mov_b64 s[4:5], -1
	v_add_u32_e32 v10, s28, v5
	v_cmp_gt_i32_e32 vcc, s34, v10
	s_and_saveexec_b64 s[18:19], vcc
	s_cbranch_execz .LBB7_20
.LBB7_26:                               ;   in Loop: Header=BB7_21 Depth=1
	s_mov_b64 s[24:25], 0
	v_mov_b32_e32 v2, v6
	v_mov_b32_e32 v11, v5
	s_branch .LBB7_28
.LBB7_27:                               ;   in Loop: Header=BB7_28 Depth=2
	v_ashrrev_i32_e32 v4, 31, v3
	v_lshlrev_b64 v[3:4], 2, v[3:4]
	v_mov_b32_e32 v12, s11
	v_add_co_u32_e32 v3, vcc, s10, v3
	v_addc_co_u32_e32 v4, vcc, v12, v4, vcc
	global_load_dword v12, v[3:4], off
	v_ashrrev_i32_e32 v3, 31, v2
	v_lshlrev_b64 v[3:4], 2, v[2:3]
	v_mov_b32_e32 v13, s23
	v_add_co_u32_e32 v3, vcc, s22, v3
	v_addc_co_u32_e32 v4, vcc, v13, v4, vcc
	global_load_dword v13, v[3:4], off
	v_add_u32_e32 v11, 4, v11
	v_add_u32_e32 v14, s28, v11
	v_cmp_le_i32_e32 vcc, s34, v14
	v_add_u32_e32 v10, 4, v10
	s_or_b64 s[24:25], vcc, s[24:25]
	v_add_u32_e32 v2, s29, v2
	s_waitcnt vmcnt(0)
	v_fma_f32 v12, -v9, v12, v13
	global_store_dword v[3:4], v12, off
	s_andn2_b64 exec, exec, s[24:25]
	s_cbranch_execz .LBB7_20
.LBB7_28:                               ;   Parent Loop BB7_21 Depth=1
                                        ; =>  This Inner Loop Header: Depth=2
	s_and_b64 vcc, exec, s[14:15]
	s_cbranch_vccz .LBB7_30
; %bb.29:                               ;   in Loop: Header=BB7_28 Depth=2
	v_add_u32_e32 v3, s30, v11
	s_cbranch_execnz .LBB7_27
	s_branch .LBB7_31
.LBB7_30:                               ;   in Loop: Header=BB7_28 Depth=2
                                        ; implicit-def: $vgpr3
.LBB7_31:                               ;   in Loop: Header=BB7_28 Depth=2
	v_add_u32_e32 v3, s13, v10
	v_mul_lo_u32 v3, v3, s34
	v_add_u32_e32 v3, s28, v3
	s_branch .LBB7_27
.LBB7_32:
	s_and_b64 s[0:1], s[4:5], exec
.LBB7_33:
	s_or_b64 exec, exec, s[16:17]
	v_cmp_eq_u32_e32 vcc, 0, v0
	s_and_b64 s[2:3], vcc, s[2:3]
	s_waitcnt vmcnt(0)
	buffer_wbinvl1_vol
	; wave barrier
	s_and_saveexec_b64 s[4:5], s[2:3]
	s_cbranch_execz .LBB7_37
; %bb.34:
	s_add_i32 s2, s6, s33
	s_ashr_i32 s3, s2, 31
	s_lshl_b64 s[2:3], s[2:3], 2
	s_add_u32 s2, s8, s2
	s_addc_u32 s3, s9, s3
	v_mov_b32_e32 v0, 0
	v_mov_b32_e32 v1, 1
	global_store_dword v0, v1, s[2:3]
	s_and_b64 exec, exec, s[0:1]
	s_cbranch_execz .LBB7_37
; %bb.35:
	v_mbcnt_lo_u32_b32 v0, exec_lo, 0
	v_mbcnt_hi_u32_b32 v0, exec_hi, v0
	v_cmp_eq_u32_e32 vcc, 0, v0
	s_and_b64 exec, exec, vcc
	s_cbranch_execz .LBB7_37
; %bb.36:
	s_add_i32 s0, s6, s12
	v_mov_b32_e32 v0, 0
	v_mov_b32_e32 v1, s0
	global_atomic_smin v0, v1, s[20:21]
.LBB7_37:
	s_endpgm
	.section	.rodata,"a",@progbits
	.p2align	6, 0x0
	.amdhsa_kernel _ZN9rocsparseL24bsrsm_lower_large_kernelILj64ELj16ELb0EfEEviiPKiS2_PKT2_iPS3_iPiS2_S7_21rocsparse_index_base_20rocsparse_diag_type_20rocsparse_direction_
		.amdhsa_group_segment_fixed_size 0
		.amdhsa_private_segment_fixed_size 0
		.amdhsa_kernarg_size 92
		.amdhsa_user_sgpr_count 6
		.amdhsa_user_sgpr_private_segment_buffer 1
		.amdhsa_user_sgpr_dispatch_ptr 0
		.amdhsa_user_sgpr_queue_ptr 0
		.amdhsa_user_sgpr_kernarg_segment_ptr 1
		.amdhsa_user_sgpr_dispatch_id 0
		.amdhsa_user_sgpr_flat_scratch_init 0
		.amdhsa_user_sgpr_private_segment_size 0
		.amdhsa_uses_dynamic_stack 0
		.amdhsa_system_sgpr_private_segment_wavefront_offset 0
		.amdhsa_system_sgpr_workgroup_id_x 1
		.amdhsa_system_sgpr_workgroup_id_y 0
		.amdhsa_system_sgpr_workgroup_id_z 0
		.amdhsa_system_sgpr_workgroup_info 0
		.amdhsa_system_vgpr_workitem_id 0
		.amdhsa_next_free_vgpr 15
		.amdhsa_next_free_sgpr 42
		.amdhsa_reserve_vcc 1
		.amdhsa_reserve_flat_scratch 0
		.amdhsa_float_round_mode_32 0
		.amdhsa_float_round_mode_16_64 0
		.amdhsa_float_denorm_mode_32 3
		.amdhsa_float_denorm_mode_16_64 3
		.amdhsa_dx10_clamp 1
		.amdhsa_ieee_mode 1
		.amdhsa_fp16_overflow 0
		.amdhsa_exception_fp_ieee_invalid_op 0
		.amdhsa_exception_fp_denorm_src 0
		.amdhsa_exception_fp_ieee_div_zero 0
		.amdhsa_exception_fp_ieee_overflow 0
		.amdhsa_exception_fp_ieee_underflow 0
		.amdhsa_exception_fp_ieee_inexact 0
		.amdhsa_exception_int_div_zero 0
	.end_amdhsa_kernel
	.section	.text._ZN9rocsparseL24bsrsm_lower_large_kernelILj64ELj16ELb0EfEEviiPKiS2_PKT2_iPS3_iPiS2_S7_21rocsparse_index_base_20rocsparse_diag_type_20rocsparse_direction_,"axG",@progbits,_ZN9rocsparseL24bsrsm_lower_large_kernelILj64ELj16ELb0EfEEviiPKiS2_PKT2_iPS3_iPiS2_S7_21rocsparse_index_base_20rocsparse_diag_type_20rocsparse_direction_,comdat
.Lfunc_end7:
	.size	_ZN9rocsparseL24bsrsm_lower_large_kernelILj64ELj16ELb0EfEEviiPKiS2_PKT2_iPS3_iPiS2_S7_21rocsparse_index_base_20rocsparse_diag_type_20rocsparse_direction_, .Lfunc_end7-_ZN9rocsparseL24bsrsm_lower_large_kernelILj64ELj16ELb0EfEEviiPKiS2_PKT2_iPS3_iPiS2_S7_21rocsparse_index_base_20rocsparse_diag_type_20rocsparse_direction_
                                        ; -- End function
	.set _ZN9rocsparseL24bsrsm_lower_large_kernelILj64ELj16ELb0EfEEviiPKiS2_PKT2_iPS3_iPiS2_S7_21rocsparse_index_base_20rocsparse_diag_type_20rocsparse_direction_.num_vgpr, 15
	.set _ZN9rocsparseL24bsrsm_lower_large_kernelILj64ELj16ELb0EfEEviiPKiS2_PKT2_iPS3_iPiS2_S7_21rocsparse_index_base_20rocsparse_diag_type_20rocsparse_direction_.num_agpr, 0
	.set _ZN9rocsparseL24bsrsm_lower_large_kernelILj64ELj16ELb0EfEEviiPKiS2_PKT2_iPS3_iPiS2_S7_21rocsparse_index_base_20rocsparse_diag_type_20rocsparse_direction_.numbered_sgpr, 42
	.set _ZN9rocsparseL24bsrsm_lower_large_kernelILj64ELj16ELb0EfEEviiPKiS2_PKT2_iPS3_iPiS2_S7_21rocsparse_index_base_20rocsparse_diag_type_20rocsparse_direction_.num_named_barrier, 0
	.set _ZN9rocsparseL24bsrsm_lower_large_kernelILj64ELj16ELb0EfEEviiPKiS2_PKT2_iPS3_iPiS2_S7_21rocsparse_index_base_20rocsparse_diag_type_20rocsparse_direction_.private_seg_size, 0
	.set _ZN9rocsparseL24bsrsm_lower_large_kernelILj64ELj16ELb0EfEEviiPKiS2_PKT2_iPS3_iPiS2_S7_21rocsparse_index_base_20rocsparse_diag_type_20rocsparse_direction_.uses_vcc, 1
	.set _ZN9rocsparseL24bsrsm_lower_large_kernelILj64ELj16ELb0EfEEviiPKiS2_PKT2_iPS3_iPiS2_S7_21rocsparse_index_base_20rocsparse_diag_type_20rocsparse_direction_.uses_flat_scratch, 0
	.set _ZN9rocsparseL24bsrsm_lower_large_kernelILj64ELj16ELb0EfEEviiPKiS2_PKT2_iPS3_iPiS2_S7_21rocsparse_index_base_20rocsparse_diag_type_20rocsparse_direction_.has_dyn_sized_stack, 0
	.set _ZN9rocsparseL24bsrsm_lower_large_kernelILj64ELj16ELb0EfEEviiPKiS2_PKT2_iPS3_iPiS2_S7_21rocsparse_index_base_20rocsparse_diag_type_20rocsparse_direction_.has_recursion, 0
	.set _ZN9rocsparseL24bsrsm_lower_large_kernelILj64ELj16ELb0EfEEviiPKiS2_PKT2_iPS3_iPiS2_S7_21rocsparse_index_base_20rocsparse_diag_type_20rocsparse_direction_.has_indirect_call, 0
	.section	.AMDGPU.csdata,"",@progbits
; Kernel info:
; codeLenInByte = 1460
; TotalNumSgprs: 46
; NumVgprs: 15
; ScratchSize: 0
; MemoryBound: 0
; FloatMode: 240
; IeeeMode: 1
; LDSByteSize: 0 bytes/workgroup (compile time only)
; SGPRBlocks: 5
; VGPRBlocks: 3
; NumSGPRsForWavesPerEU: 46
; NumVGPRsForWavesPerEU: 15
; Occupancy: 10
; WaveLimiterHint : 1
; COMPUTE_PGM_RSRC2:SCRATCH_EN: 0
; COMPUTE_PGM_RSRC2:USER_SGPR: 6
; COMPUTE_PGM_RSRC2:TRAP_HANDLER: 0
; COMPUTE_PGM_RSRC2:TGID_X_EN: 1
; COMPUTE_PGM_RSRC2:TGID_Y_EN: 0
; COMPUTE_PGM_RSRC2:TGID_Z_EN: 0
; COMPUTE_PGM_RSRC2:TIDIG_COMP_CNT: 0
	.section	.text._ZN9rocsparseL24bsrsm_upper_large_kernelILj128ELj16ELb0EfEEviiPKiS2_PKT2_iPS3_iPiS2_S7_21rocsparse_index_base_20rocsparse_diag_type_20rocsparse_direction_,"axG",@progbits,_ZN9rocsparseL24bsrsm_upper_large_kernelILj128ELj16ELb0EfEEviiPKiS2_PKT2_iPS3_iPiS2_S7_21rocsparse_index_base_20rocsparse_diag_type_20rocsparse_direction_,comdat
	.globl	_ZN9rocsparseL24bsrsm_upper_large_kernelILj128ELj16ELb0EfEEviiPKiS2_PKT2_iPS3_iPiS2_S7_21rocsparse_index_base_20rocsparse_diag_type_20rocsparse_direction_ ; -- Begin function _ZN9rocsparseL24bsrsm_upper_large_kernelILj128ELj16ELb0EfEEviiPKiS2_PKT2_iPS3_iPiS2_S7_21rocsparse_index_base_20rocsparse_diag_type_20rocsparse_direction_
	.p2align	8
	.type	_ZN9rocsparseL24bsrsm_upper_large_kernelILj128ELj16ELb0EfEEviiPKiS2_PKT2_iPS3_iPiS2_S7_21rocsparse_index_base_20rocsparse_diag_type_20rocsparse_direction_,@function
_ZN9rocsparseL24bsrsm_upper_large_kernelILj128ELj16ELb0EfEEviiPKiS2_PKT2_iPS3_iPiS2_S7_21rocsparse_index_base_20rocsparse_diag_type_20rocsparse_direction_: ; @_ZN9rocsparseL24bsrsm_upper_large_kernelILj128ELj16ELb0EfEEviiPKiS2_PKT2_iPS3_iPiS2_S7_21rocsparse_index_base_20rocsparse_diag_type_20rocsparse_direction_
; %bb.0:
	s_load_dwordx2 s[24:25], s[4:5], 0x0
	s_load_dwordx4 s[16:19], s[4:5], 0x8
	s_load_dwordx4 s[8:11], s[4:5], 0x38
	s_load_dwordx2 s[20:21], s[4:5], 0x48
	v_lshrrev_b32_e32 v6, 3, v0
	v_and_b32_e32 v5, 7, v0
	s_waitcnt lgkmcnt(0)
	v_cvt_f32_u32_e32 v1, s24
	s_sub_i32 s0, 0, s24
	v_rcp_iflag_f32_e32 v1, v1
	v_mul_f32_e32 v1, 0x4f7ffffe, v1
	v_cvt_u32_f32_e32 v1, v1
	v_readfirstlane_b32 s1, v1
	s_mul_i32 s0, s0, s1
	s_mul_hi_u32 s0, s1, s0
	s_add_i32 s1, s1, s0
	s_mul_hi_u32 s0, s6, s1
	s_mul_i32 s1, s0, s24
	s_sub_i32 s1, s6, s1
	s_add_i32 s2, s0, 1
	s_sub_i32 s3, s1, s24
	s_cmp_ge_u32 s1, s24
	s_cselect_b32 s0, s2, s0
	s_cselect_b32 s1, s3, s1
	s_add_i32 s2, s0, 1
	s_cmp_ge_u32 s1, s24
	s_cselect_b32 s26, s2, s0
	s_mul_i32 s33, s26, s24
	s_sub_i32 s0, s6, s33
	s_ashr_i32 s1, s0, 31
	s_lshl_b64 s[0:1], s[0:1], 2
	s_add_u32 s0, s10, s0
	s_addc_u32 s1, s11, s1
	s_load_dword s6, s[0:1], 0x0
	s_load_dwordx2 s[10:11], s[4:5], 0x18
	s_load_dword s34, s[4:5], 0x20
	s_load_dwordx2 s[22:23], s[4:5], 0x28
	s_load_dword s35, s[4:5], 0x30
	s_load_dwordx4 s[12:15], s[4:5], 0x50
	s_waitcnt lgkmcnt(0)
	s_ashr_i32 s7, s6, 31
	s_lshl_b64 s[0:1], s[6:7], 2
	s_add_u32 s0, s16, s0
	s_addc_u32 s1, s17, s1
	s_load_dwordx2 s[2:3], s[0:1], 0x0
	s_lshl_b32 s36, s26, 4
	s_not_b32 s0, s12
	v_or_b32_e32 v1, s36, v6
	v_cmp_gt_i32_e32 vcc, s25, v1
	s_waitcnt lgkmcnt(0)
	s_sub_i32 s15, s2, s12
	s_add_i32 s4, s3, s0
	s_cmp_lt_i32 s4, s15
	s_mul_i32 s7, s6, s34
	v_cmp_eq_u32_e64 s[0:1], 0, v0
	s_cbranch_scc1 .LBB8_17
; %bb.1:
	s_mul_i32 s5, s34, s4
	v_add_u32_e32 v2, s5, v5
	v_mul_lo_u32 v7, s34, v2
	v_cmp_gt_i32_e64 s[2:3], s34, v5
	s_cmp_lg_u32 s14, 0
	s_cselect_b64 s[16:17], -1, 0
	s_and_b64 s[2:3], vcc, s[2:3]
	s_mul_i32 s37, s35, s34
	s_mul_i32 s38, s34, s34
	s_lshl_b32 s39, s34, 3
	v_mov_b32_e32 v8, 0
	s_branch .LBB8_3
.LBB8_2:                                ;   in Loop: Header=BB8_3 Depth=1
                                        ; implicit-def: $vgpr7
	s_and_b64 vcc, exec, s[26:27]
	s_cbranch_vccnz .LBB8_18
.LBB8_3:                                ; =>This Loop Header: Depth=1
                                        ;     Child Loop BB8_6 Depth 2
                                        ;     Child Loop BB8_10 Depth 2
                                        ;       Child Loop BB8_12 Depth 3
	s_ashr_i32 s5, s4, 31
	s_lshl_b64 s[26:27], s[4:5], 2
	s_add_u32 s26, s18, s26
	s_addc_u32 s27, s19, s27
	global_load_dword v2, v8, s[26:27]
	s_mov_b64 s[26:27], -1
	s_waitcnt vmcnt(0)
	v_readfirstlane_b32 s5, v2
	s_sub_i32 s5, s5, s12
	s_cmp_le_i32 s5, s6
	s_cbranch_scc1 .LBB8_2
; %bb.4:                                ;   in Loop: Header=BB8_3 Depth=1
	s_and_saveexec_b64 s[26:27], s[0:1]
	s_cbranch_execz .LBB8_7
; %bb.5:                                ;   in Loop: Header=BB8_3 Depth=1
	s_add_i32 s28, s5, s33
	s_ashr_i32 s29, s28, 31
	s_lshl_b64 s[28:29], s[28:29], 2
	s_add_u32 s28, s8, s28
	s_addc_u32 s29, s9, s29
	global_load_dword v2, v8, s[28:29] glc
	s_waitcnt vmcnt(0)
	v_cmp_ne_u32_e32 vcc, 0, v2
	s_cbranch_vccnz .LBB8_7
.LBB8_6:                                ;   Parent Loop BB8_3 Depth=1
                                        ; =>  This Inner Loop Header: Depth=2
	global_load_dword v2, v8, s[28:29] glc
	s_waitcnt vmcnt(0)
	v_cmp_eq_u32_e32 vcc, 0, v2
	s_cbranch_vccnz .LBB8_6
.LBB8_7:                                ;   in Loop: Header=BB8_3 Depth=1
	s_or_b64 exec, exec, s[26:27]
	buffer_wbinvl1_vol
	s_barrier
	s_and_saveexec_b64 s[26:27], s[2:3]
	s_cbranch_execz .LBB8_16
; %bb.8:                                ;   in Loop: Header=BB8_3 Depth=1
	s_mul_i32 s28, s37, s5
	s_mul_i32 s40, s4, s34
	v_add_u32_e32 v9, s28, v1
	s_mov_b64 s[28:29], 0
	v_mov_b32_e32 v10, v7
	v_mov_b32_e32 v11, v5
	s_branch .LBB8_10
.LBB8_9:                                ;   in Loop: Header=BB8_10 Depth=2
	v_add_u32_e32 v2, s7, v11
	v_mad_u64_u32 v[2:3], s[30:31], v2, s35, v[1:2]
	v_mov_b32_e32 v4, s23
	v_add_u32_e32 v11, 8, v11
	v_ashrrev_i32_e32 v3, 31, v2
	v_lshlrev_b64 v[2:3], 2, v[2:3]
	v_add_u32_e32 v10, s39, v10
	v_add_co_u32_e32 v2, vcc, s22, v2
	v_addc_co_u32_e32 v3, vcc, v4, v3, vcc
	global_load_dword v4, v[2:3], off
	v_cmp_le_i32_e32 vcc, s34, v11
	s_or_b64 s[28:29], vcc, s[28:29]
	s_waitcnt vmcnt(0)
	v_sub_f32_e32 v4, v4, v12
	global_store_dword v[2:3], v4, off
	s_andn2_b64 exec, exec, s[28:29]
	s_cbranch_execz .LBB8_16
.LBB8_10:                               ;   Parent Loop BB8_3 Depth=1
                                        ; =>  This Loop Header: Depth=2
                                        ;       Child Loop BB8_12 Depth 3
	v_mov_b32_e32 v12, 0
	s_mov_b32 s41, 0
	v_mov_b32_e32 v2, v9
	s_branch .LBB8_12
.LBB8_11:                               ;   in Loop: Header=BB8_12 Depth=3
	v_ashrrev_i32_e32 v4, 31, v3
	v_lshlrev_b64 v[3:4], 2, v[3:4]
	v_mov_b32_e32 v13, s11
	v_add_co_u32_e32 v3, vcc, s10, v3
	v_addc_co_u32_e32 v4, vcc, v13, v4, vcc
	global_load_dword v13, v[3:4], off
	v_ashrrev_i32_e32 v3, 31, v2
	v_lshlrev_b64 v[3:4], 2, v[2:3]
	v_mov_b32_e32 v14, s23
	v_add_co_u32_e32 v3, vcc, s22, v3
	v_addc_co_u32_e32 v4, vcc, v14, v4, vcc
	global_load_dword v3, v[3:4], off
	s_add_i32 s41, s41, 1
	s_cmp_eq_u32 s34, s41
	v_add_u32_e32 v2, s35, v2
	s_waitcnt vmcnt(0)
	v_fmac_f32_e32 v12, v13, v3
	s_cbranch_scc1 .LBB8_9
.LBB8_12:                               ;   Parent Loop BB8_3 Depth=1
                                        ;     Parent Loop BB8_10 Depth=2
                                        ; =>    This Inner Loop Header: Depth=3
	s_and_b64 vcc, exec, s[16:17]
	s_cbranch_vccz .LBB8_14
; %bb.13:                               ;   in Loop: Header=BB8_12 Depth=3
	s_add_i32 s30, s41, s40
	s_mul_i32 s30, s30, s34
	v_add_u32_e32 v3, s30, v11
	s_cbranch_execnz .LBB8_11
	s_branch .LBB8_15
.LBB8_14:                               ;   in Loop: Header=BB8_12 Depth=3
                                        ; implicit-def: $vgpr3
.LBB8_15:                               ;   in Loop: Header=BB8_12 Depth=3
	v_add_u32_e32 v3, s41, v10
	s_branch .LBB8_11
.LBB8_16:                               ;   in Loop: Header=BB8_3 Depth=1
	s_or_b64 exec, exec, s[26:27]
	s_add_i32 s28, s4, -1
	s_cmp_le_i32 s4, s15
	v_subrev_u32_e32 v7, s38, v7
	s_cselect_b64 s[26:27], -1, 0
	s_mov_b32 s4, s28
	s_and_b64 vcc, exec, s[26:27]
	s_cbranch_vccz .LBB8_3
	s_branch .LBB8_18
.LBB8_17:
	s_mov_b32 s5, s24
.LBB8_18:
	s_cmp_lt_i32 s6, s24
	s_cselect_b64 s[2:3], -1, 0
	s_cmp_eq_u32 s6, s5
	s_cselect_b64 s[0:1], -1, 0
	v_cmp_gt_i32_e32 vcc, s25, v1
	s_and_b64 s[0:1], vcc, s[0:1]
	s_cmp_gt_i32 s34, 0
	s_cselect_b64 s[16:17], -1, 0
	s_and_b64 s[0:1], s[0:1], s[16:17]
	s_and_b64 s[18:19], s[0:1], s[2:3]
	s_mov_b64 s[0:1], 0
	s_and_saveexec_b64 s[16:17], s[18:19]
	s_cbranch_execz .LBB8_34
; %bb.19:
	v_add_u32_e32 v2, s7, v5
	s_cmp_eq_u32 s13, 0
	v_mul_lo_u32 v2, s35, v2
	s_cselect_b64 s[0:1], -1, 0
	s_cmp_lg_u32 s14, 0
	s_cselect_b64 s[14:15], -1, 0
	s_mul_i32 s13, s4, s34
	s_add_i32 s4, s4, 1
	s_mul_i32 s4, s34, s4
	v_add3_u32 v6, v6, v2, s36
	s_add_i32 s4, s4, -1
	v_cndmask_b32_e64 v2, 0, 1, s[0:1]
	s_lshl_b32 s28, s35, 3
	s_mul_i32 s29, s34, s4
	s_mov_b64 s[4:5], 0
	v_cmp_ne_u32_e64 s[0:1], 1, v2
	v_mov_b32_e32 v7, 0
	v_mov_b32_e32 v8, s23
	s_mov_b32 s23, s34
	s_add_i32 s30, s23, -1
	s_and_b64 vcc, exec, s[0:1]
	v_mov_b32_e32 v4, 1.0
	s_cbranch_vccnz .LBB8_21
.LBB8_20:
	s_add_i32 s18, s30, s13
	s_mul_i32 s18, s18, s34
	s_add_i32 s18, s18, s30
	s_ashr_i32 s19, s18, 31
	s_lshl_b64 s[18:19], s[18:19], 2
	s_add_u32 s18, s10, s18
	s_addc_u32 s19, s11, s19
	global_load_dword v4, v7, s[18:19]
.LBB8_21:                               ; =>This Loop Header: Depth=1
                                        ;     Child Loop BB8_26 Depth 2
	s_add_i32 s18, s30, s7
	s_mul_i32 s18, s18, s35
	v_add_u32_e32 v2, s18, v1
	v_ashrrev_i32_e32 v3, 31, v2
	v_lshlrev_b64 v[2:3], 2, v[2:3]
	v_add_co_u32_e32 v2, vcc, s22, v2
	v_addc_co_u32_e32 v3, vcc, v8, v3, vcc
	global_load_dword v9, v[2:3], off
	s_waitcnt vmcnt(1)
	v_cmp_eq_f32_e32 vcc, 0, v4
	s_cbranch_vccnz .LBB8_23
; %bb.22:                               ;   in Loop: Header=BB8_21 Depth=1
	s_waitcnt vmcnt(0)
	v_div_scale_f32 v10, s[18:19], v4, v4, v9
	v_div_scale_f32 v11, vcc, v9, v4, v9
	v_rcp_f32_e32 v12, v10
	v_fma_f32 v13, -v10, v12, 1.0
	v_fmac_f32_e32 v12, v13, v12
	v_mul_f32_e32 v13, v11, v12
	v_fma_f32 v14, -v10, v13, v11
	v_fmac_f32_e32 v13, v14, v12
	v_fma_f32 v10, -v10, v13, v11
	v_div_fmas_f32 v10, v10, v12, v13
	v_div_fixup_f32 v9, v10, v4, v9
	global_store_dword v[2:3], v9, off
	v_cmp_gt_i32_e32 vcc, s30, v5
	s_and_saveexec_b64 s[18:19], vcc
	s_cbranch_execnz .LBB8_24
	s_branch .LBB8_30
.LBB8_23:                               ;   in Loop: Header=BB8_21 Depth=1
	s_mov_b64 s[4:5], -1
	v_cmp_gt_i32_e32 vcc, s30, v5
	s_and_saveexec_b64 s[18:19], vcc
	s_cbranch_execz .LBB8_30
.LBB8_24:                               ;   in Loop: Header=BB8_21 Depth=1
	s_mov_b64 s[24:25], 0
	v_mov_b32_e32 v2, v6
	v_mov_b32_e32 v10, v5
	s_branch .LBB8_26
.LBB8_25:                               ;   in Loop: Header=BB8_26 Depth=2
	v_ashrrev_i32_e32 v4, 31, v3
	v_lshlrev_b64 v[3:4], 2, v[3:4]
	v_mov_b32_e32 v11, s11
	v_add_co_u32_e32 v3, vcc, s10, v3
	v_addc_co_u32_e32 v4, vcc, v11, v4, vcc
	global_load_dword v11, v[3:4], off
	v_ashrrev_i32_e32 v3, 31, v2
	v_lshlrev_b64 v[3:4], 2, v[2:3]
	v_add_u32_e32 v10, 8, v10
	v_add_co_u32_e32 v3, vcc, s22, v3
	v_addc_co_u32_e32 v4, vcc, v8, v4, vcc
	global_load_dword v12, v[3:4], off
	v_cmp_le_i32_e32 vcc, s30, v10
	s_or_b64 s[24:25], vcc, s[24:25]
	v_add_u32_e32 v2, s28, v2
	s_waitcnt vmcnt(0)
	v_fma_f32 v11, -v9, v11, v12
	global_store_dword v[3:4], v11, off
	s_andn2_b64 exec, exec, s[24:25]
	s_cbranch_execz .LBB8_30
.LBB8_26:                               ;   Parent Loop BB8_21 Depth=1
                                        ; =>  This Inner Loop Header: Depth=2
	s_and_b64 vcc, exec, s[14:15]
	s_cbranch_vccz .LBB8_28
; %bb.27:                               ;   in Loop: Header=BB8_26 Depth=2
	v_add_u32_e32 v3, s29, v10
	s_cbranch_execnz .LBB8_25
	s_branch .LBB8_29
.LBB8_28:                               ;   in Loop: Header=BB8_26 Depth=2
                                        ; implicit-def: $vgpr3
.LBB8_29:                               ;   in Loop: Header=BB8_26 Depth=2
	v_add_u32_e32 v3, s13, v10
	v_mul_lo_u32 v3, v3, s34
	v_add_u32_e32 v3, s30, v3
	s_branch .LBB8_25
.LBB8_30:                               ;   in Loop: Header=BB8_21 Depth=1
	s_or_b64 exec, exec, s[18:19]
; %bb.31:                               ;   in Loop: Header=BB8_21 Depth=1
	s_sub_i32 s29, s29, s34
	s_cmp_lt_i32 s23, 2
	s_cbranch_scc1 .LBB8_33
; %bb.32:                               ;   in Loop: Header=BB8_21 Depth=1
	s_mov_b32 s23, s30
	s_add_i32 s30, s23, -1
	s_and_b64 vcc, exec, s[0:1]
	v_mov_b32_e32 v4, 1.0
	s_cbranch_vccnz .LBB8_21
	s_branch .LBB8_20
.LBB8_33:
	s_and_b64 s[0:1], s[4:5], exec
.LBB8_34:
	s_or_b64 exec, exec, s[16:17]
	v_cmp_eq_u32_e32 vcc, 0, v0
	s_and_b64 s[2:3], vcc, s[2:3]
	s_waitcnt vmcnt(0)
	buffer_wbinvl1_vol
	s_barrier
	s_and_saveexec_b64 s[4:5], s[2:3]
	s_cbranch_execz .LBB8_38
; %bb.35:
	s_add_i32 s2, s6, s33
	s_ashr_i32 s3, s2, 31
	s_lshl_b64 s[2:3], s[2:3], 2
	s_add_u32 s2, s8, s2
	s_addc_u32 s3, s9, s3
	v_mov_b32_e32 v0, 0
	v_mov_b32_e32 v1, 1
	global_store_dword v0, v1, s[2:3]
	s_and_b64 exec, exec, s[0:1]
	s_cbranch_execz .LBB8_38
; %bb.36:
	v_mbcnt_lo_u32_b32 v0, exec_lo, 0
	v_mbcnt_hi_u32_b32 v0, exec_hi, v0
	v_cmp_eq_u32_e32 vcc, 0, v0
	s_and_b64 exec, exec, vcc
	s_cbranch_execz .LBB8_38
; %bb.37:
	s_add_i32 s0, s6, s12
	v_mov_b32_e32 v0, 0
	v_mov_b32_e32 v1, s0
	global_atomic_smin v0, v1, s[20:21]
.LBB8_38:
	s_endpgm
	.section	.rodata,"a",@progbits
	.p2align	6, 0x0
	.amdhsa_kernel _ZN9rocsparseL24bsrsm_upper_large_kernelILj128ELj16ELb0EfEEviiPKiS2_PKT2_iPS3_iPiS2_S7_21rocsparse_index_base_20rocsparse_diag_type_20rocsparse_direction_
		.amdhsa_group_segment_fixed_size 0
		.amdhsa_private_segment_fixed_size 0
		.amdhsa_kernarg_size 92
		.amdhsa_user_sgpr_count 6
		.amdhsa_user_sgpr_private_segment_buffer 1
		.amdhsa_user_sgpr_dispatch_ptr 0
		.amdhsa_user_sgpr_queue_ptr 0
		.amdhsa_user_sgpr_kernarg_segment_ptr 1
		.amdhsa_user_sgpr_dispatch_id 0
		.amdhsa_user_sgpr_flat_scratch_init 0
		.amdhsa_user_sgpr_private_segment_size 0
		.amdhsa_uses_dynamic_stack 0
		.amdhsa_system_sgpr_private_segment_wavefront_offset 0
		.amdhsa_system_sgpr_workgroup_id_x 1
		.amdhsa_system_sgpr_workgroup_id_y 0
		.amdhsa_system_sgpr_workgroup_id_z 0
		.amdhsa_system_sgpr_workgroup_info 0
		.amdhsa_system_vgpr_workitem_id 0
		.amdhsa_next_free_vgpr 15
		.amdhsa_next_free_sgpr 42
		.amdhsa_reserve_vcc 1
		.amdhsa_reserve_flat_scratch 0
		.amdhsa_float_round_mode_32 0
		.amdhsa_float_round_mode_16_64 0
		.amdhsa_float_denorm_mode_32 3
		.amdhsa_float_denorm_mode_16_64 3
		.amdhsa_dx10_clamp 1
		.amdhsa_ieee_mode 1
		.amdhsa_fp16_overflow 0
		.amdhsa_exception_fp_ieee_invalid_op 0
		.amdhsa_exception_fp_denorm_src 0
		.amdhsa_exception_fp_ieee_div_zero 0
		.amdhsa_exception_fp_ieee_overflow 0
		.amdhsa_exception_fp_ieee_underflow 0
		.amdhsa_exception_fp_ieee_inexact 0
		.amdhsa_exception_int_div_zero 0
	.end_amdhsa_kernel
	.section	.text._ZN9rocsparseL24bsrsm_upper_large_kernelILj128ELj16ELb0EfEEviiPKiS2_PKT2_iPS3_iPiS2_S7_21rocsparse_index_base_20rocsparse_diag_type_20rocsparse_direction_,"axG",@progbits,_ZN9rocsparseL24bsrsm_upper_large_kernelILj128ELj16ELb0EfEEviiPKiS2_PKT2_iPS3_iPiS2_S7_21rocsparse_index_base_20rocsparse_diag_type_20rocsparse_direction_,comdat
.Lfunc_end8:
	.size	_ZN9rocsparseL24bsrsm_upper_large_kernelILj128ELj16ELb0EfEEviiPKiS2_PKT2_iPS3_iPiS2_S7_21rocsparse_index_base_20rocsparse_diag_type_20rocsparse_direction_, .Lfunc_end8-_ZN9rocsparseL24bsrsm_upper_large_kernelILj128ELj16ELb0EfEEviiPKiS2_PKT2_iPS3_iPiS2_S7_21rocsparse_index_base_20rocsparse_diag_type_20rocsparse_direction_
                                        ; -- End function
	.set _ZN9rocsparseL24bsrsm_upper_large_kernelILj128ELj16ELb0EfEEviiPKiS2_PKT2_iPS3_iPiS2_S7_21rocsparse_index_base_20rocsparse_diag_type_20rocsparse_direction_.num_vgpr, 15
	.set _ZN9rocsparseL24bsrsm_upper_large_kernelILj128ELj16ELb0EfEEviiPKiS2_PKT2_iPS3_iPiS2_S7_21rocsparse_index_base_20rocsparse_diag_type_20rocsparse_direction_.num_agpr, 0
	.set _ZN9rocsparseL24bsrsm_upper_large_kernelILj128ELj16ELb0EfEEviiPKiS2_PKT2_iPS3_iPiS2_S7_21rocsparse_index_base_20rocsparse_diag_type_20rocsparse_direction_.numbered_sgpr, 42
	.set _ZN9rocsparseL24bsrsm_upper_large_kernelILj128ELj16ELb0EfEEviiPKiS2_PKT2_iPS3_iPiS2_S7_21rocsparse_index_base_20rocsparse_diag_type_20rocsparse_direction_.num_named_barrier, 0
	.set _ZN9rocsparseL24bsrsm_upper_large_kernelILj128ELj16ELb0EfEEviiPKiS2_PKT2_iPS3_iPiS2_S7_21rocsparse_index_base_20rocsparse_diag_type_20rocsparse_direction_.private_seg_size, 0
	.set _ZN9rocsparseL24bsrsm_upper_large_kernelILj128ELj16ELb0EfEEviiPKiS2_PKT2_iPS3_iPiS2_S7_21rocsparse_index_base_20rocsparse_diag_type_20rocsparse_direction_.uses_vcc, 1
	.set _ZN9rocsparseL24bsrsm_upper_large_kernelILj128ELj16ELb0EfEEviiPKiS2_PKT2_iPS3_iPiS2_S7_21rocsparse_index_base_20rocsparse_diag_type_20rocsparse_direction_.uses_flat_scratch, 0
	.set _ZN9rocsparseL24bsrsm_upper_large_kernelILj128ELj16ELb0EfEEviiPKiS2_PKT2_iPS3_iPiS2_S7_21rocsparse_index_base_20rocsparse_diag_type_20rocsparse_direction_.has_dyn_sized_stack, 0
	.set _ZN9rocsparseL24bsrsm_upper_large_kernelILj128ELj16ELb0EfEEviiPKiS2_PKT2_iPS3_iPiS2_S7_21rocsparse_index_base_20rocsparse_diag_type_20rocsparse_direction_.has_recursion, 0
	.set _ZN9rocsparseL24bsrsm_upper_large_kernelILj128ELj16ELb0EfEEviiPKiS2_PKT2_iPS3_iPiS2_S7_21rocsparse_index_base_20rocsparse_diag_type_20rocsparse_direction_.has_indirect_call, 0
	.section	.AMDGPU.csdata,"",@progbits
; Kernel info:
; codeLenInByte = 1472
; TotalNumSgprs: 46
; NumVgprs: 15
; ScratchSize: 0
; MemoryBound: 0
; FloatMode: 240
; IeeeMode: 1
; LDSByteSize: 0 bytes/workgroup (compile time only)
; SGPRBlocks: 5
; VGPRBlocks: 3
; NumSGPRsForWavesPerEU: 46
; NumVGPRsForWavesPerEU: 15
; Occupancy: 10
; WaveLimiterHint : 1
; COMPUTE_PGM_RSRC2:SCRATCH_EN: 0
; COMPUTE_PGM_RSRC2:USER_SGPR: 6
; COMPUTE_PGM_RSRC2:TRAP_HANDLER: 0
; COMPUTE_PGM_RSRC2:TGID_X_EN: 1
; COMPUTE_PGM_RSRC2:TGID_Y_EN: 0
; COMPUTE_PGM_RSRC2:TGID_Z_EN: 0
; COMPUTE_PGM_RSRC2:TIDIG_COMP_CNT: 0
	.section	.text._ZN9rocsparseL24bsrsm_lower_large_kernelILj128ELj16ELb0EfEEviiPKiS2_PKT2_iPS3_iPiS2_S7_21rocsparse_index_base_20rocsparse_diag_type_20rocsparse_direction_,"axG",@progbits,_ZN9rocsparseL24bsrsm_lower_large_kernelILj128ELj16ELb0EfEEviiPKiS2_PKT2_iPS3_iPiS2_S7_21rocsparse_index_base_20rocsparse_diag_type_20rocsparse_direction_,comdat
	.globl	_ZN9rocsparseL24bsrsm_lower_large_kernelILj128ELj16ELb0EfEEviiPKiS2_PKT2_iPS3_iPiS2_S7_21rocsparse_index_base_20rocsparse_diag_type_20rocsparse_direction_ ; -- Begin function _ZN9rocsparseL24bsrsm_lower_large_kernelILj128ELj16ELb0EfEEviiPKiS2_PKT2_iPS3_iPiS2_S7_21rocsparse_index_base_20rocsparse_diag_type_20rocsparse_direction_
	.p2align	8
	.type	_ZN9rocsparseL24bsrsm_lower_large_kernelILj128ELj16ELb0EfEEviiPKiS2_PKT2_iPS3_iPiS2_S7_21rocsparse_index_base_20rocsparse_diag_type_20rocsparse_direction_,@function
_ZN9rocsparseL24bsrsm_lower_large_kernelILj128ELj16ELb0EfEEviiPKiS2_PKT2_iPS3_iPiS2_S7_21rocsparse_index_base_20rocsparse_diag_type_20rocsparse_direction_: ; @_ZN9rocsparseL24bsrsm_lower_large_kernelILj128ELj16ELb0EfEEviiPKiS2_PKT2_iPS3_iPiS2_S7_21rocsparse_index_base_20rocsparse_diag_type_20rocsparse_direction_
; %bb.0:
	s_load_dwordx2 s[24:25], s[4:5], 0x0
	s_load_dwordx4 s[16:19], s[4:5], 0x8
	s_load_dwordx4 s[8:11], s[4:5], 0x38
	s_load_dwordx2 s[20:21], s[4:5], 0x48
	v_lshrrev_b32_e32 v6, 3, v0
	v_and_b32_e32 v5, 7, v0
	s_waitcnt lgkmcnt(0)
	v_cvt_f32_u32_e32 v1, s24
	s_sub_i32 s0, 0, s24
	v_rcp_iflag_f32_e32 v1, v1
	v_mul_f32_e32 v1, 0x4f7ffffe, v1
	v_cvt_u32_f32_e32 v1, v1
	v_readfirstlane_b32 s1, v1
	s_mul_i32 s0, s0, s1
	s_mul_hi_u32 s0, s1, s0
	s_add_i32 s1, s1, s0
	s_mul_hi_u32 s0, s6, s1
	s_mul_i32 s1, s0, s24
	s_sub_i32 s1, s6, s1
	s_add_i32 s2, s0, 1
	s_sub_i32 s3, s1, s24
	s_cmp_ge_u32 s1, s24
	s_cselect_b32 s0, s2, s0
	s_cselect_b32 s1, s3, s1
	s_add_i32 s2, s0, 1
	s_cmp_ge_u32 s1, s24
	s_cselect_b32 s26, s2, s0
	s_mul_i32 s33, s26, s24
	s_sub_i32 s0, s6, s33
	s_ashr_i32 s1, s0, 31
	s_lshl_b64 s[0:1], s[0:1], 2
	s_add_u32 s0, s10, s0
	s_addc_u32 s1, s11, s1
	s_load_dword s6, s[0:1], 0x0
	s_load_dwordx2 s[10:11], s[4:5], 0x18
	s_load_dword s34, s[4:5], 0x20
	s_load_dwordx2 s[22:23], s[4:5], 0x28
	s_load_dword s35, s[4:5], 0x30
	s_load_dwordx4 s[12:15], s[4:5], 0x50
	s_waitcnt lgkmcnt(0)
	s_ashr_i32 s7, s6, 31
	s_lshl_b64 s[0:1], s[6:7], 2
	s_add_u32 s0, s16, s0
	s_addc_u32 s1, s17, s1
	s_load_dwordx2 s[2:3], s[0:1], 0x0
	s_lshl_b32 s36, s26, 4
	v_or_b32_e32 v1, s36, v6
	s_mul_i32 s7, s6, s34
	v_cmp_gt_i32_e32 vcc, s25, v1
	s_waitcnt lgkmcnt(0)
	s_sub_i32 s4, s2, s12
	s_cmp_ge_i32 s2, s3
	s_mul_i32 s37, s34, s34
	v_cmp_eq_u32_e64 s[0:1], 0, v0
	s_cbranch_scc1 .LBB9_17
; %bb.1:
	s_mul_i32 s5, s34, s4
	v_add_u32_e32 v2, s5, v5
	v_mul_lo_u32 v7, s34, v2
	s_sub_i32 s15, s3, s12
	v_cmp_gt_i32_e64 s[2:3], s34, v5
	s_cmp_lg_u32 s14, 0
	s_cselect_b64 s[16:17], -1, 0
	s_and_b64 s[2:3], vcc, s[2:3]
	s_mul_i32 s38, s35, s34
	s_lshl_b32 s39, s34, 3
	v_mov_b32_e32 v8, 0
	s_branch .LBB9_3
.LBB9_2:                                ;   in Loop: Header=BB9_3 Depth=1
                                        ; implicit-def: $vgpr7
	s_and_b64 vcc, exec, s[26:27]
	s_cbranch_vccnz .LBB9_18
.LBB9_3:                                ; =>This Loop Header: Depth=1
                                        ;     Child Loop BB9_6 Depth 2
                                        ;     Child Loop BB9_10 Depth 2
                                        ;       Child Loop BB9_12 Depth 3
	s_ashr_i32 s5, s4, 31
	s_lshl_b64 s[26:27], s[4:5], 2
	s_add_u32 s26, s18, s26
	s_addc_u32 s27, s19, s27
	global_load_dword v2, v8, s[26:27]
	s_mov_b64 s[26:27], -1
	s_waitcnt vmcnt(0)
	v_readfirstlane_b32 s5, v2
	s_sub_i32 s5, s5, s12
	s_cmp_ge_i32 s5, s6
	s_cbranch_scc1 .LBB9_2
; %bb.4:                                ;   in Loop: Header=BB9_3 Depth=1
	s_and_saveexec_b64 s[26:27], s[0:1]
	s_cbranch_execz .LBB9_7
; %bb.5:                                ;   in Loop: Header=BB9_3 Depth=1
	s_add_i32 s28, s5, s33
	s_ashr_i32 s29, s28, 31
	s_lshl_b64 s[28:29], s[28:29], 2
	s_add_u32 s28, s8, s28
	s_addc_u32 s29, s9, s29
	global_load_dword v2, v8, s[28:29] glc
	s_waitcnt vmcnt(0)
	v_cmp_ne_u32_e32 vcc, 0, v2
	s_cbranch_vccnz .LBB9_7
.LBB9_6:                                ;   Parent Loop BB9_3 Depth=1
                                        ; =>  This Inner Loop Header: Depth=2
	global_load_dword v2, v8, s[28:29] glc
	s_waitcnt vmcnt(0)
	v_cmp_eq_u32_e32 vcc, 0, v2
	s_cbranch_vccnz .LBB9_6
.LBB9_7:                                ;   in Loop: Header=BB9_3 Depth=1
	s_or_b64 exec, exec, s[26:27]
	buffer_wbinvl1_vol
	s_barrier
	s_and_saveexec_b64 s[26:27], s[2:3]
	s_cbranch_execz .LBB9_16
; %bb.8:                                ;   in Loop: Header=BB9_3 Depth=1
	s_mul_i32 s28, s38, s5
	s_mul_i32 s40, s4, s34
	v_add_u32_e32 v9, s28, v1
	s_mov_b64 s[28:29], 0
	v_mov_b32_e32 v10, v7
	v_mov_b32_e32 v11, v5
	s_branch .LBB9_10
.LBB9_9:                                ;   in Loop: Header=BB9_10 Depth=2
	v_add_u32_e32 v2, s7, v11
	v_mad_u64_u32 v[2:3], s[30:31], v2, s35, v[1:2]
	v_mov_b32_e32 v4, s23
	v_add_u32_e32 v11, 8, v11
	v_ashrrev_i32_e32 v3, 31, v2
	v_lshlrev_b64 v[2:3], 2, v[2:3]
	v_add_u32_e32 v10, s39, v10
	v_add_co_u32_e32 v2, vcc, s22, v2
	v_addc_co_u32_e32 v3, vcc, v4, v3, vcc
	global_load_dword v4, v[2:3], off
	v_cmp_le_i32_e32 vcc, s34, v11
	s_or_b64 s[28:29], vcc, s[28:29]
	s_waitcnt vmcnt(0)
	v_sub_f32_e32 v4, v4, v12
	global_store_dword v[2:3], v4, off
	s_andn2_b64 exec, exec, s[28:29]
	s_cbranch_execz .LBB9_16
.LBB9_10:                               ;   Parent Loop BB9_3 Depth=1
                                        ; =>  This Loop Header: Depth=2
                                        ;       Child Loop BB9_12 Depth 3
	v_mov_b32_e32 v12, 0
	s_mov_b32 s41, 0
	v_mov_b32_e32 v2, v9
	s_branch .LBB9_12
.LBB9_11:                               ;   in Loop: Header=BB9_12 Depth=3
	v_ashrrev_i32_e32 v4, 31, v3
	v_lshlrev_b64 v[3:4], 2, v[3:4]
	v_mov_b32_e32 v13, s11
	v_add_co_u32_e32 v3, vcc, s10, v3
	v_addc_co_u32_e32 v4, vcc, v13, v4, vcc
	global_load_dword v13, v[3:4], off
	v_ashrrev_i32_e32 v3, 31, v2
	v_lshlrev_b64 v[3:4], 2, v[2:3]
	v_mov_b32_e32 v14, s23
	v_add_co_u32_e32 v3, vcc, s22, v3
	v_addc_co_u32_e32 v4, vcc, v14, v4, vcc
	global_load_dword v3, v[3:4], off
	s_add_i32 s41, s41, 1
	s_cmp_eq_u32 s34, s41
	v_add_u32_e32 v2, s35, v2
	s_waitcnt vmcnt(0)
	v_fmac_f32_e32 v12, v13, v3
	s_cbranch_scc1 .LBB9_9
.LBB9_12:                               ;   Parent Loop BB9_3 Depth=1
                                        ;     Parent Loop BB9_10 Depth=2
                                        ; =>    This Inner Loop Header: Depth=3
	s_and_b64 vcc, exec, s[16:17]
	s_cbranch_vccz .LBB9_14
; %bb.13:                               ;   in Loop: Header=BB9_12 Depth=3
	s_add_i32 s30, s41, s40
	s_mul_i32 s30, s30, s34
	v_add_u32_e32 v3, s30, v11
	s_cbranch_execnz .LBB9_11
	s_branch .LBB9_15
.LBB9_14:                               ;   in Loop: Header=BB9_12 Depth=3
                                        ; implicit-def: $vgpr3
.LBB9_15:                               ;   in Loop: Header=BB9_12 Depth=3
	v_add_u32_e32 v3, s41, v10
	s_branch .LBB9_11
.LBB9_16:                               ;   in Loop: Header=BB9_3 Depth=1
	s_or_b64 exec, exec, s[26:27]
	s_add_i32 s4, s4, 1
	s_cmp_ge_i32 s4, s15
	v_add_u32_e32 v7, s37, v7
	s_cselect_b64 s[26:27], -1, 0
	s_and_b64 vcc, exec, s[26:27]
	s_cbranch_vccz .LBB9_3
	s_branch .LBB9_18
.LBB9_17:
	s_mov_b32 s5, s24
.LBB9_18:
	s_cmp_lt_i32 s6, s24
	s_cselect_b64 s[2:3], -1, 0
	s_cmp_eq_u32 s6, s5
	s_cselect_b64 s[0:1], -1, 0
	v_cmp_gt_i32_e32 vcc, s25, v1
	s_and_b64 s[0:1], vcc, s[0:1]
	s_cmp_gt_i32 s34, 0
	s_cselect_b64 s[16:17], -1, 0
	s_and_b64 s[0:1], s[0:1], s[16:17]
	s_mov_b32 s28, 0
	s_and_b64 s[18:19], s[0:1], s[2:3]
	s_mov_b64 s[0:1], 0
	s_and_saveexec_b64 s[16:17], s[18:19]
	s_cbranch_execz .LBB9_33
; %bb.19:
	v_add_u32_e32 v2, s7, v5
	v_mul_lo_u32 v2, s35, v2
	s_cmp_eq_u32 s13, 0
	s_cselect_b64 s[0:1], -1, 0
	s_cmp_lg_u32 s14, 0
	v_add_u32_e32 v2, s35, v2
	v_add3_u32 v6, v6, v2, s36
	v_cndmask_b32_e64 v2, 0, 1, s[0:1]
	s_cselect_b64 s[14:15], -1, 0
	v_add_u32_e32 v5, 1, v5
	s_mul_i32 s13, s4, s34
	s_lshl_b32 s29, s35, 3
	s_mul_i32 s30, s4, s37
	s_add_i32 s31, s34, 1
	s_mov_b64 s[4:5], 0
	v_cmp_ne_u32_e64 s[0:1], 1, v2
	v_mov_b32_e32 v7, 0
	v_mov_b32_e32 v8, s23
	s_branch .LBB9_21
.LBB9_20:                               ;   in Loop: Header=BB9_21 Depth=1
	s_or_b64 exec, exec, s[18:19]
	s_add_i32 s28, s28, 1
	s_add_i32 s30, s30, s31
	s_cmp_eq_u32 s28, s34
	v_add_u32_e32 v6, s35, v6
	s_cbranch_scc1 .LBB9_32
.LBB9_21:                               ; =>This Loop Header: Depth=1
                                        ;     Child Loop BB9_28 Depth 2
	s_and_b64 vcc, exec, s[0:1]
	v_mov_b32_e32 v4, 1.0
	s_cbranch_vccnz .LBB9_23
; %bb.22:                               ;   in Loop: Header=BB9_21 Depth=1
	s_add_i32 s18, s28, s13
	s_mul_i32 s18, s18, s34
	s_add_i32 s18, s18, s28
	s_ashr_i32 s19, s18, 31
	s_lshl_b64 s[18:19], s[18:19], 2
	s_add_u32 s18, s10, s18
	s_addc_u32 s19, s11, s19
	global_load_dword v4, v7, s[18:19]
.LBB9_23:                               ;   in Loop: Header=BB9_21 Depth=1
	s_add_i32 s18, s28, s7
	s_mul_i32 s18, s18, s35
	v_add_u32_e32 v2, s18, v1
	v_ashrrev_i32_e32 v3, 31, v2
	v_lshlrev_b64 v[2:3], 2, v[2:3]
	v_add_co_u32_e32 v2, vcc, s22, v2
	v_addc_co_u32_e32 v3, vcc, v8, v3, vcc
	global_load_dword v9, v[2:3], off
	s_waitcnt vmcnt(1)
	v_cmp_eq_f32_e32 vcc, 0, v4
	s_cbranch_vccnz .LBB9_25
; %bb.24:                               ;   in Loop: Header=BB9_21 Depth=1
	s_waitcnt vmcnt(0)
	v_div_scale_f32 v10, s[18:19], v4, v4, v9
	v_div_scale_f32 v11, vcc, v9, v4, v9
	v_rcp_f32_e32 v12, v10
	v_fma_f32 v13, -v10, v12, 1.0
	v_fmac_f32_e32 v12, v13, v12
	v_mul_f32_e32 v13, v11, v12
	v_fma_f32 v14, -v10, v13, v11
	v_fmac_f32_e32 v13, v14, v12
	v_fma_f32 v10, -v10, v13, v11
	v_div_fmas_f32 v10, v10, v12, v13
	v_div_fixup_f32 v9, v10, v4, v9
	global_store_dword v[2:3], v9, off
	v_add_u32_e32 v10, s28, v5
	v_cmp_gt_i32_e32 vcc, s34, v10
	s_and_saveexec_b64 s[18:19], vcc
	s_cbranch_execz .LBB9_20
	s_branch .LBB9_26
.LBB9_25:                               ;   in Loop: Header=BB9_21 Depth=1
	s_mov_b64 s[4:5], -1
	v_add_u32_e32 v10, s28, v5
	v_cmp_gt_i32_e32 vcc, s34, v10
	s_and_saveexec_b64 s[18:19], vcc
	s_cbranch_execz .LBB9_20
.LBB9_26:                               ;   in Loop: Header=BB9_21 Depth=1
	s_mov_b64 s[24:25], 0
	v_mov_b32_e32 v2, v6
	v_mov_b32_e32 v11, v5
	s_branch .LBB9_28
.LBB9_27:                               ;   in Loop: Header=BB9_28 Depth=2
	v_ashrrev_i32_e32 v4, 31, v3
	v_lshlrev_b64 v[3:4], 2, v[3:4]
	v_mov_b32_e32 v12, s11
	v_add_co_u32_e32 v3, vcc, s10, v3
	v_addc_co_u32_e32 v4, vcc, v12, v4, vcc
	global_load_dword v12, v[3:4], off
	v_ashrrev_i32_e32 v3, 31, v2
	v_lshlrev_b64 v[3:4], 2, v[2:3]
	v_mov_b32_e32 v13, s23
	v_add_co_u32_e32 v3, vcc, s22, v3
	v_addc_co_u32_e32 v4, vcc, v13, v4, vcc
	global_load_dword v13, v[3:4], off
	v_add_u32_e32 v11, 8, v11
	v_add_u32_e32 v14, s28, v11
	v_cmp_le_i32_e32 vcc, s34, v14
	v_add_u32_e32 v10, 8, v10
	s_or_b64 s[24:25], vcc, s[24:25]
	v_add_u32_e32 v2, s29, v2
	s_waitcnt vmcnt(0)
	v_fma_f32 v12, -v9, v12, v13
	global_store_dword v[3:4], v12, off
	s_andn2_b64 exec, exec, s[24:25]
	s_cbranch_execz .LBB9_20
.LBB9_28:                               ;   Parent Loop BB9_21 Depth=1
                                        ; =>  This Inner Loop Header: Depth=2
	s_and_b64 vcc, exec, s[14:15]
	s_cbranch_vccz .LBB9_30
; %bb.29:                               ;   in Loop: Header=BB9_28 Depth=2
	v_add_u32_e32 v3, s30, v11
	s_cbranch_execnz .LBB9_27
	s_branch .LBB9_31
.LBB9_30:                               ;   in Loop: Header=BB9_28 Depth=2
                                        ; implicit-def: $vgpr3
.LBB9_31:                               ;   in Loop: Header=BB9_28 Depth=2
	v_add_u32_e32 v3, s13, v10
	v_mul_lo_u32 v3, v3, s34
	v_add_u32_e32 v3, s28, v3
	s_branch .LBB9_27
.LBB9_32:
	s_and_b64 s[0:1], s[4:5], exec
.LBB9_33:
	s_or_b64 exec, exec, s[16:17]
	v_cmp_eq_u32_e32 vcc, 0, v0
	s_and_b64 s[2:3], vcc, s[2:3]
	s_waitcnt vmcnt(0)
	buffer_wbinvl1_vol
	s_barrier
	s_and_saveexec_b64 s[4:5], s[2:3]
	s_cbranch_execz .LBB9_37
; %bb.34:
	s_add_i32 s2, s6, s33
	s_ashr_i32 s3, s2, 31
	s_lshl_b64 s[2:3], s[2:3], 2
	s_add_u32 s2, s8, s2
	s_addc_u32 s3, s9, s3
	v_mov_b32_e32 v0, 0
	v_mov_b32_e32 v1, 1
	global_store_dword v0, v1, s[2:3]
	s_and_b64 exec, exec, s[0:1]
	s_cbranch_execz .LBB9_37
; %bb.35:
	v_mbcnt_lo_u32_b32 v0, exec_lo, 0
	v_mbcnt_hi_u32_b32 v0, exec_hi, v0
	v_cmp_eq_u32_e32 vcc, 0, v0
	s_and_b64 exec, exec, vcc
	s_cbranch_execz .LBB9_37
; %bb.36:
	s_add_i32 s0, s6, s12
	v_mov_b32_e32 v0, 0
	v_mov_b32_e32 v1, s0
	global_atomic_smin v0, v1, s[20:21]
.LBB9_37:
	s_endpgm
	.section	.rodata,"a",@progbits
	.p2align	6, 0x0
	.amdhsa_kernel _ZN9rocsparseL24bsrsm_lower_large_kernelILj128ELj16ELb0EfEEviiPKiS2_PKT2_iPS3_iPiS2_S7_21rocsparse_index_base_20rocsparse_diag_type_20rocsparse_direction_
		.amdhsa_group_segment_fixed_size 0
		.amdhsa_private_segment_fixed_size 0
		.amdhsa_kernarg_size 92
		.amdhsa_user_sgpr_count 6
		.amdhsa_user_sgpr_private_segment_buffer 1
		.amdhsa_user_sgpr_dispatch_ptr 0
		.amdhsa_user_sgpr_queue_ptr 0
		.amdhsa_user_sgpr_kernarg_segment_ptr 1
		.amdhsa_user_sgpr_dispatch_id 0
		.amdhsa_user_sgpr_flat_scratch_init 0
		.amdhsa_user_sgpr_private_segment_size 0
		.amdhsa_uses_dynamic_stack 0
		.amdhsa_system_sgpr_private_segment_wavefront_offset 0
		.amdhsa_system_sgpr_workgroup_id_x 1
		.amdhsa_system_sgpr_workgroup_id_y 0
		.amdhsa_system_sgpr_workgroup_id_z 0
		.amdhsa_system_sgpr_workgroup_info 0
		.amdhsa_system_vgpr_workitem_id 0
		.amdhsa_next_free_vgpr 15
		.amdhsa_next_free_sgpr 42
		.amdhsa_reserve_vcc 1
		.amdhsa_reserve_flat_scratch 0
		.amdhsa_float_round_mode_32 0
		.amdhsa_float_round_mode_16_64 0
		.amdhsa_float_denorm_mode_32 3
		.amdhsa_float_denorm_mode_16_64 3
		.amdhsa_dx10_clamp 1
		.amdhsa_ieee_mode 1
		.amdhsa_fp16_overflow 0
		.amdhsa_exception_fp_ieee_invalid_op 0
		.amdhsa_exception_fp_denorm_src 0
		.amdhsa_exception_fp_ieee_div_zero 0
		.amdhsa_exception_fp_ieee_overflow 0
		.amdhsa_exception_fp_ieee_underflow 0
		.amdhsa_exception_fp_ieee_inexact 0
		.amdhsa_exception_int_div_zero 0
	.end_amdhsa_kernel
	.section	.text._ZN9rocsparseL24bsrsm_lower_large_kernelILj128ELj16ELb0EfEEviiPKiS2_PKT2_iPS3_iPiS2_S7_21rocsparse_index_base_20rocsparse_diag_type_20rocsparse_direction_,"axG",@progbits,_ZN9rocsparseL24bsrsm_lower_large_kernelILj128ELj16ELb0EfEEviiPKiS2_PKT2_iPS3_iPiS2_S7_21rocsparse_index_base_20rocsparse_diag_type_20rocsparse_direction_,comdat
.Lfunc_end9:
	.size	_ZN9rocsparseL24bsrsm_lower_large_kernelILj128ELj16ELb0EfEEviiPKiS2_PKT2_iPS3_iPiS2_S7_21rocsparse_index_base_20rocsparse_diag_type_20rocsparse_direction_, .Lfunc_end9-_ZN9rocsparseL24bsrsm_lower_large_kernelILj128ELj16ELb0EfEEviiPKiS2_PKT2_iPS3_iPiS2_S7_21rocsparse_index_base_20rocsparse_diag_type_20rocsparse_direction_
                                        ; -- End function
	.set _ZN9rocsparseL24bsrsm_lower_large_kernelILj128ELj16ELb0EfEEviiPKiS2_PKT2_iPS3_iPiS2_S7_21rocsparse_index_base_20rocsparse_diag_type_20rocsparse_direction_.num_vgpr, 15
	.set _ZN9rocsparseL24bsrsm_lower_large_kernelILj128ELj16ELb0EfEEviiPKiS2_PKT2_iPS3_iPiS2_S7_21rocsparse_index_base_20rocsparse_diag_type_20rocsparse_direction_.num_agpr, 0
	.set _ZN9rocsparseL24bsrsm_lower_large_kernelILj128ELj16ELb0EfEEviiPKiS2_PKT2_iPS3_iPiS2_S7_21rocsparse_index_base_20rocsparse_diag_type_20rocsparse_direction_.numbered_sgpr, 42
	.set _ZN9rocsparseL24bsrsm_lower_large_kernelILj128ELj16ELb0EfEEviiPKiS2_PKT2_iPS3_iPiS2_S7_21rocsparse_index_base_20rocsparse_diag_type_20rocsparse_direction_.num_named_barrier, 0
	.set _ZN9rocsparseL24bsrsm_lower_large_kernelILj128ELj16ELb0EfEEviiPKiS2_PKT2_iPS3_iPiS2_S7_21rocsparse_index_base_20rocsparse_diag_type_20rocsparse_direction_.private_seg_size, 0
	.set _ZN9rocsparseL24bsrsm_lower_large_kernelILj128ELj16ELb0EfEEviiPKiS2_PKT2_iPS3_iPiS2_S7_21rocsparse_index_base_20rocsparse_diag_type_20rocsparse_direction_.uses_vcc, 1
	.set _ZN9rocsparseL24bsrsm_lower_large_kernelILj128ELj16ELb0EfEEviiPKiS2_PKT2_iPS3_iPiS2_S7_21rocsparse_index_base_20rocsparse_diag_type_20rocsparse_direction_.uses_flat_scratch, 0
	.set _ZN9rocsparseL24bsrsm_lower_large_kernelILj128ELj16ELb0EfEEviiPKiS2_PKT2_iPS3_iPiS2_S7_21rocsparse_index_base_20rocsparse_diag_type_20rocsparse_direction_.has_dyn_sized_stack, 0
	.set _ZN9rocsparseL24bsrsm_lower_large_kernelILj128ELj16ELb0EfEEviiPKiS2_PKT2_iPS3_iPiS2_S7_21rocsparse_index_base_20rocsparse_diag_type_20rocsparse_direction_.has_recursion, 0
	.set _ZN9rocsparseL24bsrsm_lower_large_kernelILj128ELj16ELb0EfEEviiPKiS2_PKT2_iPS3_iPiS2_S7_21rocsparse_index_base_20rocsparse_diag_type_20rocsparse_direction_.has_indirect_call, 0
	.section	.AMDGPU.csdata,"",@progbits
; Kernel info:
; codeLenInByte = 1468
; TotalNumSgprs: 46
; NumVgprs: 15
; ScratchSize: 0
; MemoryBound: 0
; FloatMode: 240
; IeeeMode: 1
; LDSByteSize: 0 bytes/workgroup (compile time only)
; SGPRBlocks: 5
; VGPRBlocks: 3
; NumSGPRsForWavesPerEU: 46
; NumVGPRsForWavesPerEU: 15
; Occupancy: 10
; WaveLimiterHint : 1
; COMPUTE_PGM_RSRC2:SCRATCH_EN: 0
; COMPUTE_PGM_RSRC2:USER_SGPR: 6
; COMPUTE_PGM_RSRC2:TRAP_HANDLER: 0
; COMPUTE_PGM_RSRC2:TGID_X_EN: 1
; COMPUTE_PGM_RSRC2:TGID_Y_EN: 0
; COMPUTE_PGM_RSRC2:TGID_Z_EN: 0
; COMPUTE_PGM_RSRC2:TIDIG_COMP_CNT: 0
	.section	.text._ZN9rocsparseL24bsrsm_upper_large_kernelILj256ELj16ELb0EfEEviiPKiS2_PKT2_iPS3_iPiS2_S7_21rocsparse_index_base_20rocsparse_diag_type_20rocsparse_direction_,"axG",@progbits,_ZN9rocsparseL24bsrsm_upper_large_kernelILj256ELj16ELb0EfEEviiPKiS2_PKT2_iPS3_iPiS2_S7_21rocsparse_index_base_20rocsparse_diag_type_20rocsparse_direction_,comdat
	.globl	_ZN9rocsparseL24bsrsm_upper_large_kernelILj256ELj16ELb0EfEEviiPKiS2_PKT2_iPS3_iPiS2_S7_21rocsparse_index_base_20rocsparse_diag_type_20rocsparse_direction_ ; -- Begin function _ZN9rocsparseL24bsrsm_upper_large_kernelILj256ELj16ELb0EfEEviiPKiS2_PKT2_iPS3_iPiS2_S7_21rocsparse_index_base_20rocsparse_diag_type_20rocsparse_direction_
	.p2align	8
	.type	_ZN9rocsparseL24bsrsm_upper_large_kernelILj256ELj16ELb0EfEEviiPKiS2_PKT2_iPS3_iPiS2_S7_21rocsparse_index_base_20rocsparse_diag_type_20rocsparse_direction_,@function
_ZN9rocsparseL24bsrsm_upper_large_kernelILj256ELj16ELb0EfEEviiPKiS2_PKT2_iPS3_iPiS2_S7_21rocsparse_index_base_20rocsparse_diag_type_20rocsparse_direction_: ; @_ZN9rocsparseL24bsrsm_upper_large_kernelILj256ELj16ELb0EfEEviiPKiS2_PKT2_iPS3_iPiS2_S7_21rocsparse_index_base_20rocsparse_diag_type_20rocsparse_direction_
; %bb.0:
	s_load_dwordx2 s[24:25], s[4:5], 0x0
	s_load_dwordx4 s[16:19], s[4:5], 0x8
	s_load_dwordx4 s[8:11], s[4:5], 0x38
	s_load_dwordx2 s[20:21], s[4:5], 0x48
	v_lshrrev_b32_e32 v6, 4, v0
	v_and_b32_e32 v5, 15, v0
	s_waitcnt lgkmcnt(0)
	v_cvt_f32_u32_e32 v1, s24
	s_sub_i32 s0, 0, s24
	v_rcp_iflag_f32_e32 v1, v1
	v_mul_f32_e32 v1, 0x4f7ffffe, v1
	v_cvt_u32_f32_e32 v1, v1
	v_readfirstlane_b32 s1, v1
	s_mul_i32 s0, s0, s1
	s_mul_hi_u32 s0, s1, s0
	s_add_i32 s1, s1, s0
	s_mul_hi_u32 s0, s6, s1
	s_mul_i32 s1, s0, s24
	s_sub_i32 s1, s6, s1
	s_add_i32 s2, s0, 1
	s_sub_i32 s3, s1, s24
	s_cmp_ge_u32 s1, s24
	s_cselect_b32 s0, s2, s0
	s_cselect_b32 s1, s3, s1
	s_add_i32 s2, s0, 1
	s_cmp_ge_u32 s1, s24
	s_cselect_b32 s26, s2, s0
	s_mul_i32 s33, s26, s24
	s_sub_i32 s0, s6, s33
	s_ashr_i32 s1, s0, 31
	s_lshl_b64 s[0:1], s[0:1], 2
	s_add_u32 s0, s10, s0
	s_addc_u32 s1, s11, s1
	s_load_dword s6, s[0:1], 0x0
	s_load_dwordx2 s[10:11], s[4:5], 0x18
	s_load_dword s34, s[4:5], 0x20
	s_load_dwordx2 s[22:23], s[4:5], 0x28
	s_load_dword s35, s[4:5], 0x30
	s_load_dwordx4 s[12:15], s[4:5], 0x50
	s_waitcnt lgkmcnt(0)
	s_ashr_i32 s7, s6, 31
	s_lshl_b64 s[0:1], s[6:7], 2
	s_add_u32 s0, s16, s0
	s_addc_u32 s1, s17, s1
	s_load_dwordx2 s[2:3], s[0:1], 0x0
	s_lshl_b32 s36, s26, 4
	s_not_b32 s0, s12
	v_or_b32_e32 v1, s36, v6
	v_cmp_gt_i32_e32 vcc, s25, v1
	s_waitcnt lgkmcnt(0)
	s_sub_i32 s15, s2, s12
	s_add_i32 s4, s3, s0
	s_cmp_lt_i32 s4, s15
	s_mul_i32 s7, s6, s34
	v_cmp_eq_u32_e64 s[0:1], 0, v0
	s_cbranch_scc1 .LBB10_17
; %bb.1:
	s_mul_i32 s5, s34, s4
	v_add_u32_e32 v2, s5, v5
	v_mul_lo_u32 v7, s34, v2
	v_cmp_gt_i32_e64 s[2:3], s34, v5
	s_cmp_lg_u32 s14, 0
	s_cselect_b64 s[16:17], -1, 0
	s_and_b64 s[2:3], vcc, s[2:3]
	s_mul_i32 s37, s35, s34
	s_mul_i32 s38, s34, s34
	s_lshl_b32 s39, s34, 4
	v_mov_b32_e32 v8, 0
	s_branch .LBB10_3
.LBB10_2:                               ;   in Loop: Header=BB10_3 Depth=1
                                        ; implicit-def: $vgpr7
	s_and_b64 vcc, exec, s[26:27]
	s_cbranch_vccnz .LBB10_18
.LBB10_3:                               ; =>This Loop Header: Depth=1
                                        ;     Child Loop BB10_6 Depth 2
                                        ;     Child Loop BB10_10 Depth 2
                                        ;       Child Loop BB10_12 Depth 3
	s_ashr_i32 s5, s4, 31
	s_lshl_b64 s[26:27], s[4:5], 2
	s_add_u32 s26, s18, s26
	s_addc_u32 s27, s19, s27
	global_load_dword v2, v8, s[26:27]
	s_mov_b64 s[26:27], -1
	s_waitcnt vmcnt(0)
	v_readfirstlane_b32 s5, v2
	s_sub_i32 s5, s5, s12
	s_cmp_le_i32 s5, s6
	s_cbranch_scc1 .LBB10_2
; %bb.4:                                ;   in Loop: Header=BB10_3 Depth=1
	s_and_saveexec_b64 s[26:27], s[0:1]
	s_cbranch_execz .LBB10_7
; %bb.5:                                ;   in Loop: Header=BB10_3 Depth=1
	s_add_i32 s28, s5, s33
	s_ashr_i32 s29, s28, 31
	s_lshl_b64 s[28:29], s[28:29], 2
	s_add_u32 s28, s8, s28
	s_addc_u32 s29, s9, s29
	global_load_dword v2, v8, s[28:29] glc
	s_waitcnt vmcnt(0)
	v_cmp_ne_u32_e32 vcc, 0, v2
	s_cbranch_vccnz .LBB10_7
.LBB10_6:                               ;   Parent Loop BB10_3 Depth=1
                                        ; =>  This Inner Loop Header: Depth=2
	global_load_dword v2, v8, s[28:29] glc
	s_waitcnt vmcnt(0)
	v_cmp_eq_u32_e32 vcc, 0, v2
	s_cbranch_vccnz .LBB10_6
.LBB10_7:                               ;   in Loop: Header=BB10_3 Depth=1
	s_or_b64 exec, exec, s[26:27]
	buffer_wbinvl1_vol
	s_barrier
	s_and_saveexec_b64 s[26:27], s[2:3]
	s_cbranch_execz .LBB10_16
; %bb.8:                                ;   in Loop: Header=BB10_3 Depth=1
	s_mul_i32 s28, s37, s5
	s_mul_i32 s40, s4, s34
	v_add_u32_e32 v9, s28, v1
	s_mov_b64 s[28:29], 0
	v_mov_b32_e32 v10, v7
	v_mov_b32_e32 v11, v5
	s_branch .LBB10_10
.LBB10_9:                               ;   in Loop: Header=BB10_10 Depth=2
	v_add_u32_e32 v2, s7, v11
	v_mad_u64_u32 v[2:3], s[30:31], v2, s35, v[1:2]
	v_mov_b32_e32 v4, s23
	v_add_u32_e32 v11, 16, v11
	v_ashrrev_i32_e32 v3, 31, v2
	v_lshlrev_b64 v[2:3], 2, v[2:3]
	v_add_u32_e32 v10, s39, v10
	v_add_co_u32_e32 v2, vcc, s22, v2
	v_addc_co_u32_e32 v3, vcc, v4, v3, vcc
	global_load_dword v4, v[2:3], off
	v_cmp_le_i32_e32 vcc, s34, v11
	s_or_b64 s[28:29], vcc, s[28:29]
	s_waitcnt vmcnt(0)
	v_sub_f32_e32 v4, v4, v12
	global_store_dword v[2:3], v4, off
	s_andn2_b64 exec, exec, s[28:29]
	s_cbranch_execz .LBB10_16
.LBB10_10:                              ;   Parent Loop BB10_3 Depth=1
                                        ; =>  This Loop Header: Depth=2
                                        ;       Child Loop BB10_12 Depth 3
	v_mov_b32_e32 v12, 0
	s_mov_b32 s41, 0
	v_mov_b32_e32 v2, v9
	s_branch .LBB10_12
.LBB10_11:                              ;   in Loop: Header=BB10_12 Depth=3
	v_ashrrev_i32_e32 v4, 31, v3
	v_lshlrev_b64 v[3:4], 2, v[3:4]
	v_mov_b32_e32 v13, s11
	v_add_co_u32_e32 v3, vcc, s10, v3
	v_addc_co_u32_e32 v4, vcc, v13, v4, vcc
	global_load_dword v13, v[3:4], off
	v_ashrrev_i32_e32 v3, 31, v2
	v_lshlrev_b64 v[3:4], 2, v[2:3]
	v_mov_b32_e32 v14, s23
	v_add_co_u32_e32 v3, vcc, s22, v3
	v_addc_co_u32_e32 v4, vcc, v14, v4, vcc
	global_load_dword v3, v[3:4], off
	s_add_i32 s41, s41, 1
	s_cmp_eq_u32 s34, s41
	v_add_u32_e32 v2, s35, v2
	s_waitcnt vmcnt(0)
	v_fmac_f32_e32 v12, v13, v3
	s_cbranch_scc1 .LBB10_9
.LBB10_12:                              ;   Parent Loop BB10_3 Depth=1
                                        ;     Parent Loop BB10_10 Depth=2
                                        ; =>    This Inner Loop Header: Depth=3
	s_and_b64 vcc, exec, s[16:17]
	s_cbranch_vccz .LBB10_14
; %bb.13:                               ;   in Loop: Header=BB10_12 Depth=3
	s_add_i32 s30, s41, s40
	s_mul_i32 s30, s30, s34
	v_add_u32_e32 v3, s30, v11
	s_cbranch_execnz .LBB10_11
	s_branch .LBB10_15
.LBB10_14:                              ;   in Loop: Header=BB10_12 Depth=3
                                        ; implicit-def: $vgpr3
.LBB10_15:                              ;   in Loop: Header=BB10_12 Depth=3
	v_add_u32_e32 v3, s41, v10
	s_branch .LBB10_11
.LBB10_16:                              ;   in Loop: Header=BB10_3 Depth=1
	s_or_b64 exec, exec, s[26:27]
	s_add_i32 s28, s4, -1
	s_cmp_le_i32 s4, s15
	v_subrev_u32_e32 v7, s38, v7
	s_cselect_b64 s[26:27], -1, 0
	s_mov_b32 s4, s28
	s_and_b64 vcc, exec, s[26:27]
	s_cbranch_vccz .LBB10_3
	s_branch .LBB10_18
.LBB10_17:
	s_mov_b32 s5, s24
.LBB10_18:
	s_cmp_lt_i32 s6, s24
	s_cselect_b64 s[2:3], -1, 0
	s_cmp_eq_u32 s6, s5
	s_cselect_b64 s[0:1], -1, 0
	v_cmp_gt_i32_e32 vcc, s25, v1
	s_and_b64 s[0:1], vcc, s[0:1]
	s_cmp_gt_i32 s34, 0
	s_cselect_b64 s[16:17], -1, 0
	s_and_b64 s[0:1], s[0:1], s[16:17]
	s_and_b64 s[18:19], s[0:1], s[2:3]
	s_mov_b64 s[0:1], 0
	s_and_saveexec_b64 s[16:17], s[18:19]
	s_cbranch_execz .LBB10_34
; %bb.19:
	v_add_u32_e32 v2, s7, v5
	s_cmp_eq_u32 s13, 0
	v_mul_lo_u32 v2, s35, v2
	s_cselect_b64 s[0:1], -1, 0
	s_cmp_lg_u32 s14, 0
	s_cselect_b64 s[14:15], -1, 0
	s_mul_i32 s13, s4, s34
	s_add_i32 s4, s4, 1
	s_mul_i32 s4, s34, s4
	v_add3_u32 v6, v6, v2, s36
	s_add_i32 s4, s4, -1
	v_cndmask_b32_e64 v2, 0, 1, s[0:1]
	s_lshl_b32 s28, s35, 4
	s_mul_i32 s29, s34, s4
	s_mov_b64 s[4:5], 0
	v_cmp_ne_u32_e64 s[0:1], 1, v2
	v_mov_b32_e32 v7, 0
	v_mov_b32_e32 v8, s23
	s_mov_b32 s30, s34
	s_add_i32 s31, s30, -1
	s_and_b64 vcc, exec, s[0:1]
	v_mov_b32_e32 v4, 1.0
	s_cbranch_vccnz .LBB10_21
.LBB10_20:
	s_add_i32 s18, s31, s13
	s_mul_i32 s18, s18, s34
	s_add_i32 s18, s18, s31
	s_ashr_i32 s19, s18, 31
	s_lshl_b64 s[18:19], s[18:19], 2
	s_add_u32 s18, s10, s18
	s_addc_u32 s19, s11, s19
	global_load_dword v4, v7, s[18:19]
.LBB10_21:                              ; =>This Loop Header: Depth=1
                                        ;     Child Loop BB10_26 Depth 2
	s_add_i32 s18, s31, s7
	s_mul_i32 s18, s18, s35
	v_add_u32_e32 v2, s18, v1
	v_ashrrev_i32_e32 v3, 31, v2
	v_lshlrev_b64 v[2:3], 2, v[2:3]
	v_add_co_u32_e32 v2, vcc, s22, v2
	v_addc_co_u32_e32 v3, vcc, v8, v3, vcc
	global_load_dword v9, v[2:3], off
	s_waitcnt vmcnt(1)
	v_cmp_eq_f32_e32 vcc, 0, v4
	s_cbranch_vccnz .LBB10_23
; %bb.22:                               ;   in Loop: Header=BB10_21 Depth=1
	s_waitcnt vmcnt(0)
	v_div_scale_f32 v10, s[18:19], v4, v4, v9
	v_div_scale_f32 v11, vcc, v9, v4, v9
	v_rcp_f32_e32 v12, v10
	v_fma_f32 v13, -v10, v12, 1.0
	v_fmac_f32_e32 v12, v13, v12
	v_mul_f32_e32 v13, v11, v12
	v_fma_f32 v14, -v10, v13, v11
	v_fmac_f32_e32 v13, v14, v12
	v_fma_f32 v10, -v10, v13, v11
	v_div_fmas_f32 v10, v10, v12, v13
	v_div_fixup_f32 v9, v10, v4, v9
	global_store_dword v[2:3], v9, off
	v_cmp_gt_i32_e32 vcc, s31, v5
	s_and_saveexec_b64 s[18:19], vcc
	s_cbranch_execnz .LBB10_24
	s_branch .LBB10_30
.LBB10_23:                              ;   in Loop: Header=BB10_21 Depth=1
	s_mov_b64 s[4:5], -1
	v_cmp_gt_i32_e32 vcc, s31, v5
	s_and_saveexec_b64 s[18:19], vcc
	s_cbranch_execz .LBB10_30
.LBB10_24:                              ;   in Loop: Header=BB10_21 Depth=1
	s_mov_b64 s[24:25], 0
	v_mov_b32_e32 v2, v6
	v_mov_b32_e32 v10, v5
	s_branch .LBB10_26
.LBB10_25:                              ;   in Loop: Header=BB10_26 Depth=2
	v_ashrrev_i32_e32 v4, 31, v3
	v_lshlrev_b64 v[3:4], 2, v[3:4]
	v_mov_b32_e32 v11, s11
	v_add_co_u32_e32 v3, vcc, s10, v3
	v_addc_co_u32_e32 v4, vcc, v11, v4, vcc
	global_load_dword v11, v[3:4], off
	v_ashrrev_i32_e32 v3, 31, v2
	v_lshlrev_b64 v[3:4], 2, v[2:3]
	v_mov_b32_e32 v12, s23
	v_add_co_u32_e32 v3, vcc, s22, v3
	v_addc_co_u32_e32 v4, vcc, v12, v4, vcc
	global_load_dword v12, v[3:4], off
	v_add_u32_e32 v10, 16, v10
	v_cmp_le_i32_e32 vcc, s31, v10
	s_or_b64 s[24:25], vcc, s[24:25]
	v_add_u32_e32 v2, s28, v2
	s_waitcnt vmcnt(0)
	v_fma_f32 v11, -v9, v11, v12
	global_store_dword v[3:4], v11, off
	s_andn2_b64 exec, exec, s[24:25]
	s_cbranch_execz .LBB10_30
.LBB10_26:                              ;   Parent Loop BB10_21 Depth=1
                                        ; =>  This Inner Loop Header: Depth=2
	s_and_b64 vcc, exec, s[14:15]
	s_cbranch_vccz .LBB10_28
; %bb.27:                               ;   in Loop: Header=BB10_26 Depth=2
	v_add_u32_e32 v3, s29, v10
	s_cbranch_execnz .LBB10_25
	s_branch .LBB10_29
.LBB10_28:                              ;   in Loop: Header=BB10_26 Depth=2
                                        ; implicit-def: $vgpr3
.LBB10_29:                              ;   in Loop: Header=BB10_26 Depth=2
	v_add_u32_e32 v3, s13, v10
	v_mul_lo_u32 v3, v3, s34
	v_add_u32_e32 v3, s31, v3
	s_branch .LBB10_25
.LBB10_30:                              ;   in Loop: Header=BB10_21 Depth=1
	s_or_b64 exec, exec, s[18:19]
; %bb.31:                               ;   in Loop: Header=BB10_21 Depth=1
	s_sub_i32 s29, s29, s34
	s_cmp_lt_i32 s30, 2
	s_cbranch_scc1 .LBB10_33
; %bb.32:                               ;   in Loop: Header=BB10_21 Depth=1
	s_mov_b32 s30, s31
	s_add_i32 s31, s30, -1
	s_and_b64 vcc, exec, s[0:1]
	v_mov_b32_e32 v4, 1.0
	s_cbranch_vccnz .LBB10_21
	s_branch .LBB10_20
.LBB10_33:
	s_and_b64 s[0:1], s[4:5], exec
.LBB10_34:
	s_or_b64 exec, exec, s[16:17]
	v_cmp_eq_u32_e32 vcc, 0, v0
	s_and_b64 s[2:3], vcc, s[2:3]
	s_waitcnt vmcnt(0)
	buffer_wbinvl1_vol
	s_barrier
	s_and_saveexec_b64 s[4:5], s[2:3]
	s_cbranch_execz .LBB10_38
; %bb.35:
	s_add_i32 s2, s6, s33
	s_ashr_i32 s3, s2, 31
	s_lshl_b64 s[2:3], s[2:3], 2
	s_add_u32 s2, s8, s2
	s_addc_u32 s3, s9, s3
	v_mov_b32_e32 v0, 0
	v_mov_b32_e32 v1, 1
	global_store_dword v0, v1, s[2:3]
	s_and_b64 exec, exec, s[0:1]
	s_cbranch_execz .LBB10_38
; %bb.36:
	v_mbcnt_lo_u32_b32 v0, exec_lo, 0
	v_mbcnt_hi_u32_b32 v0, exec_hi, v0
	v_cmp_eq_u32_e32 vcc, 0, v0
	s_and_b64 exec, exec, vcc
	s_cbranch_execz .LBB10_38
; %bb.37:
	s_add_i32 s0, s6, s12
	v_mov_b32_e32 v0, 0
	v_mov_b32_e32 v1, s0
	global_atomic_smin v0, v1, s[20:21]
.LBB10_38:
	s_endpgm
	.section	.rodata,"a",@progbits
	.p2align	6, 0x0
	.amdhsa_kernel _ZN9rocsparseL24bsrsm_upper_large_kernelILj256ELj16ELb0EfEEviiPKiS2_PKT2_iPS3_iPiS2_S7_21rocsparse_index_base_20rocsparse_diag_type_20rocsparse_direction_
		.amdhsa_group_segment_fixed_size 0
		.amdhsa_private_segment_fixed_size 0
		.amdhsa_kernarg_size 92
		.amdhsa_user_sgpr_count 6
		.amdhsa_user_sgpr_private_segment_buffer 1
		.amdhsa_user_sgpr_dispatch_ptr 0
		.amdhsa_user_sgpr_queue_ptr 0
		.amdhsa_user_sgpr_kernarg_segment_ptr 1
		.amdhsa_user_sgpr_dispatch_id 0
		.amdhsa_user_sgpr_flat_scratch_init 0
		.amdhsa_user_sgpr_private_segment_size 0
		.amdhsa_uses_dynamic_stack 0
		.amdhsa_system_sgpr_private_segment_wavefront_offset 0
		.amdhsa_system_sgpr_workgroup_id_x 1
		.amdhsa_system_sgpr_workgroup_id_y 0
		.amdhsa_system_sgpr_workgroup_id_z 0
		.amdhsa_system_sgpr_workgroup_info 0
		.amdhsa_system_vgpr_workitem_id 0
		.amdhsa_next_free_vgpr 15
		.amdhsa_next_free_sgpr 42
		.amdhsa_reserve_vcc 1
		.amdhsa_reserve_flat_scratch 0
		.amdhsa_float_round_mode_32 0
		.amdhsa_float_round_mode_16_64 0
		.amdhsa_float_denorm_mode_32 3
		.amdhsa_float_denorm_mode_16_64 3
		.amdhsa_dx10_clamp 1
		.amdhsa_ieee_mode 1
		.amdhsa_fp16_overflow 0
		.amdhsa_exception_fp_ieee_invalid_op 0
		.amdhsa_exception_fp_denorm_src 0
		.amdhsa_exception_fp_ieee_div_zero 0
		.amdhsa_exception_fp_ieee_overflow 0
		.amdhsa_exception_fp_ieee_underflow 0
		.amdhsa_exception_fp_ieee_inexact 0
		.amdhsa_exception_int_div_zero 0
	.end_amdhsa_kernel
	.section	.text._ZN9rocsparseL24bsrsm_upper_large_kernelILj256ELj16ELb0EfEEviiPKiS2_PKT2_iPS3_iPiS2_S7_21rocsparse_index_base_20rocsparse_diag_type_20rocsparse_direction_,"axG",@progbits,_ZN9rocsparseL24bsrsm_upper_large_kernelILj256ELj16ELb0EfEEviiPKiS2_PKT2_iPS3_iPiS2_S7_21rocsparse_index_base_20rocsparse_diag_type_20rocsparse_direction_,comdat
.Lfunc_end10:
	.size	_ZN9rocsparseL24bsrsm_upper_large_kernelILj256ELj16ELb0EfEEviiPKiS2_PKT2_iPS3_iPiS2_S7_21rocsparse_index_base_20rocsparse_diag_type_20rocsparse_direction_, .Lfunc_end10-_ZN9rocsparseL24bsrsm_upper_large_kernelILj256ELj16ELb0EfEEviiPKiS2_PKT2_iPS3_iPiS2_S7_21rocsparse_index_base_20rocsparse_diag_type_20rocsparse_direction_
                                        ; -- End function
	.set _ZN9rocsparseL24bsrsm_upper_large_kernelILj256ELj16ELb0EfEEviiPKiS2_PKT2_iPS3_iPiS2_S7_21rocsparse_index_base_20rocsparse_diag_type_20rocsparse_direction_.num_vgpr, 15
	.set _ZN9rocsparseL24bsrsm_upper_large_kernelILj256ELj16ELb0EfEEviiPKiS2_PKT2_iPS3_iPiS2_S7_21rocsparse_index_base_20rocsparse_diag_type_20rocsparse_direction_.num_agpr, 0
	.set _ZN9rocsparseL24bsrsm_upper_large_kernelILj256ELj16ELb0EfEEviiPKiS2_PKT2_iPS3_iPiS2_S7_21rocsparse_index_base_20rocsparse_diag_type_20rocsparse_direction_.numbered_sgpr, 42
	.set _ZN9rocsparseL24bsrsm_upper_large_kernelILj256ELj16ELb0EfEEviiPKiS2_PKT2_iPS3_iPiS2_S7_21rocsparse_index_base_20rocsparse_diag_type_20rocsparse_direction_.num_named_barrier, 0
	.set _ZN9rocsparseL24bsrsm_upper_large_kernelILj256ELj16ELb0EfEEviiPKiS2_PKT2_iPS3_iPiS2_S7_21rocsparse_index_base_20rocsparse_diag_type_20rocsparse_direction_.private_seg_size, 0
	.set _ZN9rocsparseL24bsrsm_upper_large_kernelILj256ELj16ELb0EfEEviiPKiS2_PKT2_iPS3_iPiS2_S7_21rocsparse_index_base_20rocsparse_diag_type_20rocsparse_direction_.uses_vcc, 1
	.set _ZN9rocsparseL24bsrsm_upper_large_kernelILj256ELj16ELb0EfEEviiPKiS2_PKT2_iPS3_iPiS2_S7_21rocsparse_index_base_20rocsparse_diag_type_20rocsparse_direction_.uses_flat_scratch, 0
	.set _ZN9rocsparseL24bsrsm_upper_large_kernelILj256ELj16ELb0EfEEviiPKiS2_PKT2_iPS3_iPiS2_S7_21rocsparse_index_base_20rocsparse_diag_type_20rocsparse_direction_.has_dyn_sized_stack, 0
	.set _ZN9rocsparseL24bsrsm_upper_large_kernelILj256ELj16ELb0EfEEviiPKiS2_PKT2_iPS3_iPiS2_S7_21rocsparse_index_base_20rocsparse_diag_type_20rocsparse_direction_.has_recursion, 0
	.set _ZN9rocsparseL24bsrsm_upper_large_kernelILj256ELj16ELb0EfEEviiPKiS2_PKT2_iPS3_iPiS2_S7_21rocsparse_index_base_20rocsparse_diag_type_20rocsparse_direction_.has_indirect_call, 0
	.section	.AMDGPU.csdata,"",@progbits
; Kernel info:
; codeLenInByte = 1476
; TotalNumSgprs: 46
; NumVgprs: 15
; ScratchSize: 0
; MemoryBound: 0
; FloatMode: 240
; IeeeMode: 1
; LDSByteSize: 0 bytes/workgroup (compile time only)
; SGPRBlocks: 5
; VGPRBlocks: 3
; NumSGPRsForWavesPerEU: 46
; NumVGPRsForWavesPerEU: 15
; Occupancy: 10
; WaveLimiterHint : 1
; COMPUTE_PGM_RSRC2:SCRATCH_EN: 0
; COMPUTE_PGM_RSRC2:USER_SGPR: 6
; COMPUTE_PGM_RSRC2:TRAP_HANDLER: 0
; COMPUTE_PGM_RSRC2:TGID_X_EN: 1
; COMPUTE_PGM_RSRC2:TGID_Y_EN: 0
; COMPUTE_PGM_RSRC2:TGID_Z_EN: 0
; COMPUTE_PGM_RSRC2:TIDIG_COMP_CNT: 0
	.section	.text._ZN9rocsparseL24bsrsm_lower_large_kernelILj256ELj16ELb0EfEEviiPKiS2_PKT2_iPS3_iPiS2_S7_21rocsparse_index_base_20rocsparse_diag_type_20rocsparse_direction_,"axG",@progbits,_ZN9rocsparseL24bsrsm_lower_large_kernelILj256ELj16ELb0EfEEviiPKiS2_PKT2_iPS3_iPiS2_S7_21rocsparse_index_base_20rocsparse_diag_type_20rocsparse_direction_,comdat
	.globl	_ZN9rocsparseL24bsrsm_lower_large_kernelILj256ELj16ELb0EfEEviiPKiS2_PKT2_iPS3_iPiS2_S7_21rocsparse_index_base_20rocsparse_diag_type_20rocsparse_direction_ ; -- Begin function _ZN9rocsparseL24bsrsm_lower_large_kernelILj256ELj16ELb0EfEEviiPKiS2_PKT2_iPS3_iPiS2_S7_21rocsparse_index_base_20rocsparse_diag_type_20rocsparse_direction_
	.p2align	8
	.type	_ZN9rocsparseL24bsrsm_lower_large_kernelILj256ELj16ELb0EfEEviiPKiS2_PKT2_iPS3_iPiS2_S7_21rocsparse_index_base_20rocsparse_diag_type_20rocsparse_direction_,@function
_ZN9rocsparseL24bsrsm_lower_large_kernelILj256ELj16ELb0EfEEviiPKiS2_PKT2_iPS3_iPiS2_S7_21rocsparse_index_base_20rocsparse_diag_type_20rocsparse_direction_: ; @_ZN9rocsparseL24bsrsm_lower_large_kernelILj256ELj16ELb0EfEEviiPKiS2_PKT2_iPS3_iPiS2_S7_21rocsparse_index_base_20rocsparse_diag_type_20rocsparse_direction_
; %bb.0:
	s_load_dwordx2 s[24:25], s[4:5], 0x0
	s_load_dwordx4 s[16:19], s[4:5], 0x8
	s_load_dwordx4 s[8:11], s[4:5], 0x38
	s_load_dwordx2 s[20:21], s[4:5], 0x48
	v_lshrrev_b32_e32 v6, 4, v0
	v_and_b32_e32 v5, 15, v0
	s_waitcnt lgkmcnt(0)
	v_cvt_f32_u32_e32 v1, s24
	s_sub_i32 s0, 0, s24
	v_rcp_iflag_f32_e32 v1, v1
	v_mul_f32_e32 v1, 0x4f7ffffe, v1
	v_cvt_u32_f32_e32 v1, v1
	v_readfirstlane_b32 s1, v1
	s_mul_i32 s0, s0, s1
	s_mul_hi_u32 s0, s1, s0
	s_add_i32 s1, s1, s0
	s_mul_hi_u32 s0, s6, s1
	s_mul_i32 s1, s0, s24
	s_sub_i32 s1, s6, s1
	s_add_i32 s2, s0, 1
	s_sub_i32 s3, s1, s24
	s_cmp_ge_u32 s1, s24
	s_cselect_b32 s0, s2, s0
	s_cselect_b32 s1, s3, s1
	s_add_i32 s2, s0, 1
	s_cmp_ge_u32 s1, s24
	s_cselect_b32 s26, s2, s0
	s_mul_i32 s33, s26, s24
	s_sub_i32 s0, s6, s33
	s_ashr_i32 s1, s0, 31
	s_lshl_b64 s[0:1], s[0:1], 2
	s_add_u32 s0, s10, s0
	s_addc_u32 s1, s11, s1
	s_load_dword s6, s[0:1], 0x0
	s_load_dwordx2 s[10:11], s[4:5], 0x18
	s_load_dword s34, s[4:5], 0x20
	s_load_dwordx2 s[22:23], s[4:5], 0x28
	s_load_dword s35, s[4:5], 0x30
	s_load_dwordx4 s[12:15], s[4:5], 0x50
	s_waitcnt lgkmcnt(0)
	s_ashr_i32 s7, s6, 31
	s_lshl_b64 s[0:1], s[6:7], 2
	s_add_u32 s0, s16, s0
	s_addc_u32 s1, s17, s1
	s_load_dwordx2 s[2:3], s[0:1], 0x0
	s_lshl_b32 s36, s26, 4
	v_or_b32_e32 v1, s36, v6
	s_mul_i32 s7, s6, s34
	v_cmp_gt_i32_e32 vcc, s25, v1
	s_waitcnt lgkmcnt(0)
	s_sub_i32 s4, s2, s12
	s_cmp_ge_i32 s2, s3
	s_mul_i32 s37, s34, s34
	v_cmp_eq_u32_e64 s[0:1], 0, v0
	s_cbranch_scc1 .LBB11_17
; %bb.1:
	s_mul_i32 s5, s34, s4
	v_add_u32_e32 v2, s5, v5
	v_mul_lo_u32 v7, s34, v2
	s_sub_i32 s15, s3, s12
	v_cmp_gt_i32_e64 s[2:3], s34, v5
	s_cmp_lg_u32 s14, 0
	s_cselect_b64 s[16:17], -1, 0
	s_and_b64 s[2:3], vcc, s[2:3]
	s_mul_i32 s38, s35, s34
	s_lshl_b32 s39, s34, 4
	v_mov_b32_e32 v8, 0
	s_branch .LBB11_3
.LBB11_2:                               ;   in Loop: Header=BB11_3 Depth=1
                                        ; implicit-def: $vgpr7
	s_and_b64 vcc, exec, s[26:27]
	s_cbranch_vccnz .LBB11_18
.LBB11_3:                               ; =>This Loop Header: Depth=1
                                        ;     Child Loop BB11_6 Depth 2
                                        ;     Child Loop BB11_10 Depth 2
                                        ;       Child Loop BB11_12 Depth 3
	s_ashr_i32 s5, s4, 31
	s_lshl_b64 s[26:27], s[4:5], 2
	s_add_u32 s26, s18, s26
	s_addc_u32 s27, s19, s27
	global_load_dword v2, v8, s[26:27]
	s_mov_b64 s[26:27], -1
	s_waitcnt vmcnt(0)
	v_readfirstlane_b32 s5, v2
	s_sub_i32 s5, s5, s12
	s_cmp_ge_i32 s5, s6
	s_cbranch_scc1 .LBB11_2
; %bb.4:                                ;   in Loop: Header=BB11_3 Depth=1
	s_and_saveexec_b64 s[26:27], s[0:1]
	s_cbranch_execz .LBB11_7
; %bb.5:                                ;   in Loop: Header=BB11_3 Depth=1
	s_add_i32 s28, s5, s33
	s_ashr_i32 s29, s28, 31
	s_lshl_b64 s[28:29], s[28:29], 2
	s_add_u32 s28, s8, s28
	s_addc_u32 s29, s9, s29
	global_load_dword v2, v8, s[28:29] glc
	s_waitcnt vmcnt(0)
	v_cmp_ne_u32_e32 vcc, 0, v2
	s_cbranch_vccnz .LBB11_7
.LBB11_6:                               ;   Parent Loop BB11_3 Depth=1
                                        ; =>  This Inner Loop Header: Depth=2
	global_load_dword v2, v8, s[28:29] glc
	s_waitcnt vmcnt(0)
	v_cmp_eq_u32_e32 vcc, 0, v2
	s_cbranch_vccnz .LBB11_6
.LBB11_7:                               ;   in Loop: Header=BB11_3 Depth=1
	s_or_b64 exec, exec, s[26:27]
	buffer_wbinvl1_vol
	s_barrier
	s_and_saveexec_b64 s[26:27], s[2:3]
	s_cbranch_execz .LBB11_16
; %bb.8:                                ;   in Loop: Header=BB11_3 Depth=1
	s_mul_i32 s28, s38, s5
	s_mul_i32 s40, s4, s34
	v_add_u32_e32 v9, s28, v1
	s_mov_b64 s[28:29], 0
	v_mov_b32_e32 v10, v7
	v_mov_b32_e32 v11, v5
	s_branch .LBB11_10
.LBB11_9:                               ;   in Loop: Header=BB11_10 Depth=2
	v_add_u32_e32 v2, s7, v11
	v_mad_u64_u32 v[2:3], s[30:31], v2, s35, v[1:2]
	v_mov_b32_e32 v4, s23
	v_add_u32_e32 v11, 16, v11
	v_ashrrev_i32_e32 v3, 31, v2
	v_lshlrev_b64 v[2:3], 2, v[2:3]
	v_add_u32_e32 v10, s39, v10
	v_add_co_u32_e32 v2, vcc, s22, v2
	v_addc_co_u32_e32 v3, vcc, v4, v3, vcc
	global_load_dword v4, v[2:3], off
	v_cmp_le_i32_e32 vcc, s34, v11
	s_or_b64 s[28:29], vcc, s[28:29]
	s_waitcnt vmcnt(0)
	v_sub_f32_e32 v4, v4, v12
	global_store_dword v[2:3], v4, off
	s_andn2_b64 exec, exec, s[28:29]
	s_cbranch_execz .LBB11_16
.LBB11_10:                              ;   Parent Loop BB11_3 Depth=1
                                        ; =>  This Loop Header: Depth=2
                                        ;       Child Loop BB11_12 Depth 3
	v_mov_b32_e32 v12, 0
	s_mov_b32 s41, 0
	v_mov_b32_e32 v2, v9
	s_branch .LBB11_12
.LBB11_11:                              ;   in Loop: Header=BB11_12 Depth=3
	v_ashrrev_i32_e32 v4, 31, v3
	v_lshlrev_b64 v[3:4], 2, v[3:4]
	v_mov_b32_e32 v13, s11
	v_add_co_u32_e32 v3, vcc, s10, v3
	v_addc_co_u32_e32 v4, vcc, v13, v4, vcc
	global_load_dword v13, v[3:4], off
	v_ashrrev_i32_e32 v3, 31, v2
	v_lshlrev_b64 v[3:4], 2, v[2:3]
	v_mov_b32_e32 v14, s23
	v_add_co_u32_e32 v3, vcc, s22, v3
	v_addc_co_u32_e32 v4, vcc, v14, v4, vcc
	global_load_dword v3, v[3:4], off
	s_add_i32 s41, s41, 1
	s_cmp_eq_u32 s34, s41
	v_add_u32_e32 v2, s35, v2
	s_waitcnt vmcnt(0)
	v_fmac_f32_e32 v12, v13, v3
	s_cbranch_scc1 .LBB11_9
.LBB11_12:                              ;   Parent Loop BB11_3 Depth=1
                                        ;     Parent Loop BB11_10 Depth=2
                                        ; =>    This Inner Loop Header: Depth=3
	s_and_b64 vcc, exec, s[16:17]
	s_cbranch_vccz .LBB11_14
; %bb.13:                               ;   in Loop: Header=BB11_12 Depth=3
	s_add_i32 s30, s41, s40
	s_mul_i32 s30, s30, s34
	v_add_u32_e32 v3, s30, v11
	s_cbranch_execnz .LBB11_11
	s_branch .LBB11_15
.LBB11_14:                              ;   in Loop: Header=BB11_12 Depth=3
                                        ; implicit-def: $vgpr3
.LBB11_15:                              ;   in Loop: Header=BB11_12 Depth=3
	v_add_u32_e32 v3, s41, v10
	s_branch .LBB11_11
.LBB11_16:                              ;   in Loop: Header=BB11_3 Depth=1
	s_or_b64 exec, exec, s[26:27]
	s_add_i32 s4, s4, 1
	s_cmp_ge_i32 s4, s15
	v_add_u32_e32 v7, s37, v7
	s_cselect_b64 s[26:27], -1, 0
	s_and_b64 vcc, exec, s[26:27]
	s_cbranch_vccz .LBB11_3
	s_branch .LBB11_18
.LBB11_17:
	s_mov_b32 s5, s24
.LBB11_18:
	s_cmp_lt_i32 s6, s24
	s_cselect_b64 s[2:3], -1, 0
	s_cmp_eq_u32 s6, s5
	s_cselect_b64 s[0:1], -1, 0
	v_cmp_gt_i32_e32 vcc, s25, v1
	s_and_b64 s[0:1], vcc, s[0:1]
	s_cmp_gt_i32 s34, 0
	s_cselect_b64 s[16:17], -1, 0
	s_and_b64 s[0:1], s[0:1], s[16:17]
	s_mov_b32 s28, 0
	s_and_b64 s[18:19], s[0:1], s[2:3]
	s_mov_b64 s[0:1], 0
	s_and_saveexec_b64 s[16:17], s[18:19]
	s_cbranch_execz .LBB11_33
; %bb.19:
	v_add_u32_e32 v2, s7, v5
	v_mul_lo_u32 v2, s35, v2
	s_cmp_eq_u32 s13, 0
	s_cselect_b64 s[0:1], -1, 0
	s_cmp_lg_u32 s14, 0
	v_add_u32_e32 v2, s35, v2
	v_add3_u32 v6, v6, v2, s36
	v_cndmask_b32_e64 v2, 0, 1, s[0:1]
	s_cselect_b64 s[14:15], -1, 0
	v_add_u32_e32 v5, 1, v5
	s_mul_i32 s13, s4, s34
	s_lshl_b32 s29, s35, 4
	s_mul_i32 s30, s4, s37
	s_add_i32 s31, s34, 1
	s_mov_b64 s[4:5], 0
	v_cmp_ne_u32_e64 s[0:1], 1, v2
	v_mov_b32_e32 v7, 0
	v_mov_b32_e32 v8, s23
	s_branch .LBB11_21
.LBB11_20:                              ;   in Loop: Header=BB11_21 Depth=1
	s_or_b64 exec, exec, s[18:19]
	s_add_i32 s28, s28, 1
	s_add_i32 s30, s30, s31
	s_cmp_eq_u32 s28, s34
	v_add_u32_e32 v6, s35, v6
	s_cbranch_scc1 .LBB11_32
.LBB11_21:                              ; =>This Loop Header: Depth=1
                                        ;     Child Loop BB11_28 Depth 2
	s_and_b64 vcc, exec, s[0:1]
	v_mov_b32_e32 v4, 1.0
	s_cbranch_vccnz .LBB11_23
; %bb.22:                               ;   in Loop: Header=BB11_21 Depth=1
	s_add_i32 s18, s28, s13
	s_mul_i32 s18, s18, s34
	s_add_i32 s18, s18, s28
	s_ashr_i32 s19, s18, 31
	s_lshl_b64 s[18:19], s[18:19], 2
	s_add_u32 s18, s10, s18
	s_addc_u32 s19, s11, s19
	global_load_dword v4, v7, s[18:19]
.LBB11_23:                              ;   in Loop: Header=BB11_21 Depth=1
	s_add_i32 s18, s28, s7
	s_mul_i32 s18, s18, s35
	v_add_u32_e32 v2, s18, v1
	v_ashrrev_i32_e32 v3, 31, v2
	v_lshlrev_b64 v[2:3], 2, v[2:3]
	v_add_co_u32_e32 v2, vcc, s22, v2
	v_addc_co_u32_e32 v3, vcc, v8, v3, vcc
	global_load_dword v9, v[2:3], off
	s_waitcnt vmcnt(1)
	v_cmp_eq_f32_e32 vcc, 0, v4
	s_cbranch_vccnz .LBB11_25
; %bb.24:                               ;   in Loop: Header=BB11_21 Depth=1
	s_waitcnt vmcnt(0)
	v_div_scale_f32 v10, s[18:19], v4, v4, v9
	v_div_scale_f32 v11, vcc, v9, v4, v9
	v_rcp_f32_e32 v12, v10
	v_fma_f32 v13, -v10, v12, 1.0
	v_fmac_f32_e32 v12, v13, v12
	v_mul_f32_e32 v13, v11, v12
	v_fma_f32 v14, -v10, v13, v11
	v_fmac_f32_e32 v13, v14, v12
	v_fma_f32 v10, -v10, v13, v11
	v_div_fmas_f32 v10, v10, v12, v13
	v_div_fixup_f32 v9, v10, v4, v9
	global_store_dword v[2:3], v9, off
	v_add_u32_e32 v10, s28, v5
	v_cmp_gt_i32_e32 vcc, s34, v10
	s_and_saveexec_b64 s[18:19], vcc
	s_cbranch_execz .LBB11_20
	s_branch .LBB11_26
.LBB11_25:                              ;   in Loop: Header=BB11_21 Depth=1
	s_mov_b64 s[4:5], -1
	v_add_u32_e32 v10, s28, v5
	v_cmp_gt_i32_e32 vcc, s34, v10
	s_and_saveexec_b64 s[18:19], vcc
	s_cbranch_execz .LBB11_20
.LBB11_26:                              ;   in Loop: Header=BB11_21 Depth=1
	s_mov_b64 s[24:25], 0
	v_mov_b32_e32 v2, v6
	v_mov_b32_e32 v11, v5
	s_branch .LBB11_28
.LBB11_27:                              ;   in Loop: Header=BB11_28 Depth=2
	v_ashrrev_i32_e32 v4, 31, v3
	v_lshlrev_b64 v[3:4], 2, v[3:4]
	v_mov_b32_e32 v12, s11
	v_add_co_u32_e32 v3, vcc, s10, v3
	v_addc_co_u32_e32 v4, vcc, v12, v4, vcc
	global_load_dword v12, v[3:4], off
	v_ashrrev_i32_e32 v3, 31, v2
	v_lshlrev_b64 v[3:4], 2, v[2:3]
	v_mov_b32_e32 v13, s23
	v_add_co_u32_e32 v3, vcc, s22, v3
	v_addc_co_u32_e32 v4, vcc, v13, v4, vcc
	global_load_dword v13, v[3:4], off
	v_add_u32_e32 v11, 16, v11
	v_add_u32_e32 v14, s28, v11
	v_cmp_le_i32_e32 vcc, s34, v14
	v_add_u32_e32 v10, 16, v10
	s_or_b64 s[24:25], vcc, s[24:25]
	v_add_u32_e32 v2, s29, v2
	s_waitcnt vmcnt(0)
	v_fma_f32 v12, -v9, v12, v13
	global_store_dword v[3:4], v12, off
	s_andn2_b64 exec, exec, s[24:25]
	s_cbranch_execz .LBB11_20
.LBB11_28:                              ;   Parent Loop BB11_21 Depth=1
                                        ; =>  This Inner Loop Header: Depth=2
	s_and_b64 vcc, exec, s[14:15]
	s_cbranch_vccz .LBB11_30
; %bb.29:                               ;   in Loop: Header=BB11_28 Depth=2
	v_add_u32_e32 v3, s30, v11
	s_cbranch_execnz .LBB11_27
	s_branch .LBB11_31
.LBB11_30:                              ;   in Loop: Header=BB11_28 Depth=2
                                        ; implicit-def: $vgpr3
.LBB11_31:                              ;   in Loop: Header=BB11_28 Depth=2
	v_add_u32_e32 v3, s13, v10
	v_mul_lo_u32 v3, v3, s34
	v_add_u32_e32 v3, s28, v3
	s_branch .LBB11_27
.LBB11_32:
	s_and_b64 s[0:1], s[4:5], exec
.LBB11_33:
	s_or_b64 exec, exec, s[16:17]
	v_cmp_eq_u32_e32 vcc, 0, v0
	s_and_b64 s[2:3], vcc, s[2:3]
	s_waitcnt vmcnt(0)
	buffer_wbinvl1_vol
	s_barrier
	s_and_saveexec_b64 s[4:5], s[2:3]
	s_cbranch_execz .LBB11_37
; %bb.34:
	s_add_i32 s2, s6, s33
	s_ashr_i32 s3, s2, 31
	s_lshl_b64 s[2:3], s[2:3], 2
	s_add_u32 s2, s8, s2
	s_addc_u32 s3, s9, s3
	v_mov_b32_e32 v0, 0
	v_mov_b32_e32 v1, 1
	global_store_dword v0, v1, s[2:3]
	s_and_b64 exec, exec, s[0:1]
	s_cbranch_execz .LBB11_37
; %bb.35:
	v_mbcnt_lo_u32_b32 v0, exec_lo, 0
	v_mbcnt_hi_u32_b32 v0, exec_hi, v0
	v_cmp_eq_u32_e32 vcc, 0, v0
	s_and_b64 exec, exec, vcc
	s_cbranch_execz .LBB11_37
; %bb.36:
	s_add_i32 s0, s6, s12
	v_mov_b32_e32 v0, 0
	v_mov_b32_e32 v1, s0
	global_atomic_smin v0, v1, s[20:21]
.LBB11_37:
	s_endpgm
	.section	.rodata,"a",@progbits
	.p2align	6, 0x0
	.amdhsa_kernel _ZN9rocsparseL24bsrsm_lower_large_kernelILj256ELj16ELb0EfEEviiPKiS2_PKT2_iPS3_iPiS2_S7_21rocsparse_index_base_20rocsparse_diag_type_20rocsparse_direction_
		.amdhsa_group_segment_fixed_size 0
		.amdhsa_private_segment_fixed_size 0
		.amdhsa_kernarg_size 92
		.amdhsa_user_sgpr_count 6
		.amdhsa_user_sgpr_private_segment_buffer 1
		.amdhsa_user_sgpr_dispatch_ptr 0
		.amdhsa_user_sgpr_queue_ptr 0
		.amdhsa_user_sgpr_kernarg_segment_ptr 1
		.amdhsa_user_sgpr_dispatch_id 0
		.amdhsa_user_sgpr_flat_scratch_init 0
		.amdhsa_user_sgpr_private_segment_size 0
		.amdhsa_uses_dynamic_stack 0
		.amdhsa_system_sgpr_private_segment_wavefront_offset 0
		.amdhsa_system_sgpr_workgroup_id_x 1
		.amdhsa_system_sgpr_workgroup_id_y 0
		.amdhsa_system_sgpr_workgroup_id_z 0
		.amdhsa_system_sgpr_workgroup_info 0
		.amdhsa_system_vgpr_workitem_id 0
		.amdhsa_next_free_vgpr 15
		.amdhsa_next_free_sgpr 42
		.amdhsa_reserve_vcc 1
		.amdhsa_reserve_flat_scratch 0
		.amdhsa_float_round_mode_32 0
		.amdhsa_float_round_mode_16_64 0
		.amdhsa_float_denorm_mode_32 3
		.amdhsa_float_denorm_mode_16_64 3
		.amdhsa_dx10_clamp 1
		.amdhsa_ieee_mode 1
		.amdhsa_fp16_overflow 0
		.amdhsa_exception_fp_ieee_invalid_op 0
		.amdhsa_exception_fp_denorm_src 0
		.amdhsa_exception_fp_ieee_div_zero 0
		.amdhsa_exception_fp_ieee_overflow 0
		.amdhsa_exception_fp_ieee_underflow 0
		.amdhsa_exception_fp_ieee_inexact 0
		.amdhsa_exception_int_div_zero 0
	.end_amdhsa_kernel
	.section	.text._ZN9rocsparseL24bsrsm_lower_large_kernelILj256ELj16ELb0EfEEviiPKiS2_PKT2_iPS3_iPiS2_S7_21rocsparse_index_base_20rocsparse_diag_type_20rocsparse_direction_,"axG",@progbits,_ZN9rocsparseL24bsrsm_lower_large_kernelILj256ELj16ELb0EfEEviiPKiS2_PKT2_iPS3_iPiS2_S7_21rocsparse_index_base_20rocsparse_diag_type_20rocsparse_direction_,comdat
.Lfunc_end11:
	.size	_ZN9rocsparseL24bsrsm_lower_large_kernelILj256ELj16ELb0EfEEviiPKiS2_PKT2_iPS3_iPiS2_S7_21rocsparse_index_base_20rocsparse_diag_type_20rocsparse_direction_, .Lfunc_end11-_ZN9rocsparseL24bsrsm_lower_large_kernelILj256ELj16ELb0EfEEviiPKiS2_PKT2_iPS3_iPiS2_S7_21rocsparse_index_base_20rocsparse_diag_type_20rocsparse_direction_
                                        ; -- End function
	.set _ZN9rocsparseL24bsrsm_lower_large_kernelILj256ELj16ELb0EfEEviiPKiS2_PKT2_iPS3_iPiS2_S7_21rocsparse_index_base_20rocsparse_diag_type_20rocsparse_direction_.num_vgpr, 15
	.set _ZN9rocsparseL24bsrsm_lower_large_kernelILj256ELj16ELb0EfEEviiPKiS2_PKT2_iPS3_iPiS2_S7_21rocsparse_index_base_20rocsparse_diag_type_20rocsparse_direction_.num_agpr, 0
	.set _ZN9rocsparseL24bsrsm_lower_large_kernelILj256ELj16ELb0EfEEviiPKiS2_PKT2_iPS3_iPiS2_S7_21rocsparse_index_base_20rocsparse_diag_type_20rocsparse_direction_.numbered_sgpr, 42
	.set _ZN9rocsparseL24bsrsm_lower_large_kernelILj256ELj16ELb0EfEEviiPKiS2_PKT2_iPS3_iPiS2_S7_21rocsparse_index_base_20rocsparse_diag_type_20rocsparse_direction_.num_named_barrier, 0
	.set _ZN9rocsparseL24bsrsm_lower_large_kernelILj256ELj16ELb0EfEEviiPKiS2_PKT2_iPS3_iPiS2_S7_21rocsparse_index_base_20rocsparse_diag_type_20rocsparse_direction_.private_seg_size, 0
	.set _ZN9rocsparseL24bsrsm_lower_large_kernelILj256ELj16ELb0EfEEviiPKiS2_PKT2_iPS3_iPiS2_S7_21rocsparse_index_base_20rocsparse_diag_type_20rocsparse_direction_.uses_vcc, 1
	.set _ZN9rocsparseL24bsrsm_lower_large_kernelILj256ELj16ELb0EfEEviiPKiS2_PKT2_iPS3_iPiS2_S7_21rocsparse_index_base_20rocsparse_diag_type_20rocsparse_direction_.uses_flat_scratch, 0
	.set _ZN9rocsparseL24bsrsm_lower_large_kernelILj256ELj16ELb0EfEEviiPKiS2_PKT2_iPS3_iPiS2_S7_21rocsparse_index_base_20rocsparse_diag_type_20rocsparse_direction_.has_dyn_sized_stack, 0
	.set _ZN9rocsparseL24bsrsm_lower_large_kernelILj256ELj16ELb0EfEEviiPKiS2_PKT2_iPS3_iPiS2_S7_21rocsparse_index_base_20rocsparse_diag_type_20rocsparse_direction_.has_recursion, 0
	.set _ZN9rocsparseL24bsrsm_lower_large_kernelILj256ELj16ELb0EfEEviiPKiS2_PKT2_iPS3_iPiS2_S7_21rocsparse_index_base_20rocsparse_diag_type_20rocsparse_direction_.has_indirect_call, 0
	.section	.AMDGPU.csdata,"",@progbits
; Kernel info:
; codeLenInByte = 1468
; TotalNumSgprs: 46
; NumVgprs: 15
; ScratchSize: 0
; MemoryBound: 0
; FloatMode: 240
; IeeeMode: 1
; LDSByteSize: 0 bytes/workgroup (compile time only)
; SGPRBlocks: 5
; VGPRBlocks: 3
; NumSGPRsForWavesPerEU: 46
; NumVGPRsForWavesPerEU: 15
; Occupancy: 10
; WaveLimiterHint : 1
; COMPUTE_PGM_RSRC2:SCRATCH_EN: 0
; COMPUTE_PGM_RSRC2:USER_SGPR: 6
; COMPUTE_PGM_RSRC2:TRAP_HANDLER: 0
; COMPUTE_PGM_RSRC2:TGID_X_EN: 1
; COMPUTE_PGM_RSRC2:TGID_Y_EN: 0
; COMPUTE_PGM_RSRC2:TGID_Z_EN: 0
; COMPUTE_PGM_RSRC2:TIDIG_COMP_CNT: 0
	.section	.text._ZN9rocsparseL24bsrsm_upper_large_kernelILj512ELj16ELb0EfEEviiPKiS2_PKT2_iPS3_iPiS2_S7_21rocsparse_index_base_20rocsparse_diag_type_20rocsparse_direction_,"axG",@progbits,_ZN9rocsparseL24bsrsm_upper_large_kernelILj512ELj16ELb0EfEEviiPKiS2_PKT2_iPS3_iPiS2_S7_21rocsparse_index_base_20rocsparse_diag_type_20rocsparse_direction_,comdat
	.globl	_ZN9rocsparseL24bsrsm_upper_large_kernelILj512ELj16ELb0EfEEviiPKiS2_PKT2_iPS3_iPiS2_S7_21rocsparse_index_base_20rocsparse_diag_type_20rocsparse_direction_ ; -- Begin function _ZN9rocsparseL24bsrsm_upper_large_kernelILj512ELj16ELb0EfEEviiPKiS2_PKT2_iPS3_iPiS2_S7_21rocsparse_index_base_20rocsparse_diag_type_20rocsparse_direction_
	.p2align	8
	.type	_ZN9rocsparseL24bsrsm_upper_large_kernelILj512ELj16ELb0EfEEviiPKiS2_PKT2_iPS3_iPiS2_S7_21rocsparse_index_base_20rocsparse_diag_type_20rocsparse_direction_,@function
_ZN9rocsparseL24bsrsm_upper_large_kernelILj512ELj16ELb0EfEEviiPKiS2_PKT2_iPS3_iPiS2_S7_21rocsparse_index_base_20rocsparse_diag_type_20rocsparse_direction_: ; @_ZN9rocsparseL24bsrsm_upper_large_kernelILj512ELj16ELb0EfEEviiPKiS2_PKT2_iPS3_iPiS2_S7_21rocsparse_index_base_20rocsparse_diag_type_20rocsparse_direction_
; %bb.0:
	s_load_dwordx2 s[24:25], s[4:5], 0x0
	s_load_dwordx4 s[16:19], s[4:5], 0x8
	s_load_dwordx4 s[8:11], s[4:5], 0x38
	s_load_dwordx2 s[20:21], s[4:5], 0x48
	v_lshrrev_b32_e32 v6, 5, v0
	v_and_b32_e32 v5, 31, v0
	s_waitcnt lgkmcnt(0)
	v_cvt_f32_u32_e32 v1, s24
	s_sub_i32 s0, 0, s24
	v_rcp_iflag_f32_e32 v1, v1
	v_mul_f32_e32 v1, 0x4f7ffffe, v1
	v_cvt_u32_f32_e32 v1, v1
	v_readfirstlane_b32 s1, v1
	s_mul_i32 s0, s0, s1
	s_mul_hi_u32 s0, s1, s0
	s_add_i32 s1, s1, s0
	s_mul_hi_u32 s0, s6, s1
	s_mul_i32 s1, s0, s24
	s_sub_i32 s1, s6, s1
	s_add_i32 s2, s0, 1
	s_sub_i32 s3, s1, s24
	s_cmp_ge_u32 s1, s24
	s_cselect_b32 s0, s2, s0
	s_cselect_b32 s1, s3, s1
	s_add_i32 s2, s0, 1
	s_cmp_ge_u32 s1, s24
	s_cselect_b32 s26, s2, s0
	s_mul_i32 s33, s26, s24
	s_sub_i32 s0, s6, s33
	s_ashr_i32 s1, s0, 31
	s_lshl_b64 s[0:1], s[0:1], 2
	s_add_u32 s0, s10, s0
	s_addc_u32 s1, s11, s1
	s_load_dword s6, s[0:1], 0x0
	s_load_dwordx2 s[10:11], s[4:5], 0x18
	s_load_dword s34, s[4:5], 0x20
	s_load_dwordx2 s[22:23], s[4:5], 0x28
	s_load_dword s35, s[4:5], 0x30
	s_load_dwordx4 s[12:15], s[4:5], 0x50
	s_waitcnt lgkmcnt(0)
	s_ashr_i32 s7, s6, 31
	s_lshl_b64 s[0:1], s[6:7], 2
	s_add_u32 s0, s16, s0
	s_addc_u32 s1, s17, s1
	s_load_dwordx2 s[2:3], s[0:1], 0x0
	s_lshl_b32 s36, s26, 4
	s_not_b32 s0, s12
	v_or_b32_e32 v1, s36, v6
	v_cmp_gt_i32_e32 vcc, s25, v1
	s_waitcnt lgkmcnt(0)
	s_sub_i32 s15, s2, s12
	s_add_i32 s4, s3, s0
	s_cmp_lt_i32 s4, s15
	s_mul_i32 s7, s6, s34
	v_cmp_eq_u32_e64 s[0:1], 0, v0
	s_cbranch_scc1 .LBB12_17
; %bb.1:
	s_mul_i32 s5, s34, s4
	v_add_u32_e32 v2, s5, v5
	v_mul_lo_u32 v7, s34, v2
	v_cmp_gt_i32_e64 s[2:3], s34, v5
	s_cmp_lg_u32 s14, 0
	s_cselect_b64 s[16:17], -1, 0
	s_and_b64 s[2:3], vcc, s[2:3]
	s_mul_i32 s37, s35, s34
	s_mul_i32 s38, s34, s34
	s_lshl_b32 s39, s34, 5
	v_mov_b32_e32 v8, 0
	s_branch .LBB12_3
.LBB12_2:                               ;   in Loop: Header=BB12_3 Depth=1
                                        ; implicit-def: $vgpr7
	s_and_b64 vcc, exec, s[26:27]
	s_cbranch_vccnz .LBB12_18
.LBB12_3:                               ; =>This Loop Header: Depth=1
                                        ;     Child Loop BB12_6 Depth 2
                                        ;     Child Loop BB12_10 Depth 2
                                        ;       Child Loop BB12_12 Depth 3
	s_ashr_i32 s5, s4, 31
	s_lshl_b64 s[26:27], s[4:5], 2
	s_add_u32 s26, s18, s26
	s_addc_u32 s27, s19, s27
	global_load_dword v2, v8, s[26:27]
	s_mov_b64 s[26:27], -1
	s_waitcnt vmcnt(0)
	v_readfirstlane_b32 s5, v2
	s_sub_i32 s5, s5, s12
	s_cmp_le_i32 s5, s6
	s_cbranch_scc1 .LBB12_2
; %bb.4:                                ;   in Loop: Header=BB12_3 Depth=1
	s_and_saveexec_b64 s[26:27], s[0:1]
	s_cbranch_execz .LBB12_7
; %bb.5:                                ;   in Loop: Header=BB12_3 Depth=1
	s_add_i32 s28, s5, s33
	s_ashr_i32 s29, s28, 31
	s_lshl_b64 s[28:29], s[28:29], 2
	s_add_u32 s28, s8, s28
	s_addc_u32 s29, s9, s29
	global_load_dword v2, v8, s[28:29] glc
	s_waitcnt vmcnt(0)
	v_cmp_ne_u32_e32 vcc, 0, v2
	s_cbranch_vccnz .LBB12_7
.LBB12_6:                               ;   Parent Loop BB12_3 Depth=1
                                        ; =>  This Inner Loop Header: Depth=2
	global_load_dword v2, v8, s[28:29] glc
	s_waitcnt vmcnt(0)
	v_cmp_eq_u32_e32 vcc, 0, v2
	s_cbranch_vccnz .LBB12_6
.LBB12_7:                               ;   in Loop: Header=BB12_3 Depth=1
	s_or_b64 exec, exec, s[26:27]
	buffer_wbinvl1_vol
	s_barrier
	s_and_saveexec_b64 s[26:27], s[2:3]
	s_cbranch_execz .LBB12_16
; %bb.8:                                ;   in Loop: Header=BB12_3 Depth=1
	s_mul_i32 s28, s37, s5
	s_mul_i32 s40, s4, s34
	v_add_u32_e32 v9, s28, v1
	s_mov_b64 s[28:29], 0
	v_mov_b32_e32 v10, v7
	v_mov_b32_e32 v11, v5
	s_branch .LBB12_10
.LBB12_9:                               ;   in Loop: Header=BB12_10 Depth=2
	v_add_u32_e32 v2, s7, v11
	v_mad_u64_u32 v[2:3], s[30:31], v2, s35, v[1:2]
	v_mov_b32_e32 v4, s23
	v_add_u32_e32 v11, 32, v11
	v_ashrrev_i32_e32 v3, 31, v2
	v_lshlrev_b64 v[2:3], 2, v[2:3]
	v_add_u32_e32 v10, s39, v10
	v_add_co_u32_e32 v2, vcc, s22, v2
	v_addc_co_u32_e32 v3, vcc, v4, v3, vcc
	global_load_dword v4, v[2:3], off
	v_cmp_le_i32_e32 vcc, s34, v11
	s_or_b64 s[28:29], vcc, s[28:29]
	s_waitcnt vmcnt(0)
	v_sub_f32_e32 v4, v4, v12
	global_store_dword v[2:3], v4, off
	s_andn2_b64 exec, exec, s[28:29]
	s_cbranch_execz .LBB12_16
.LBB12_10:                              ;   Parent Loop BB12_3 Depth=1
                                        ; =>  This Loop Header: Depth=2
                                        ;       Child Loop BB12_12 Depth 3
	v_mov_b32_e32 v12, 0
	s_mov_b32 s41, 0
	v_mov_b32_e32 v2, v9
	s_branch .LBB12_12
.LBB12_11:                              ;   in Loop: Header=BB12_12 Depth=3
	v_ashrrev_i32_e32 v4, 31, v3
	v_lshlrev_b64 v[3:4], 2, v[3:4]
	v_mov_b32_e32 v13, s11
	v_add_co_u32_e32 v3, vcc, s10, v3
	v_addc_co_u32_e32 v4, vcc, v13, v4, vcc
	global_load_dword v13, v[3:4], off
	v_ashrrev_i32_e32 v3, 31, v2
	v_lshlrev_b64 v[3:4], 2, v[2:3]
	v_mov_b32_e32 v14, s23
	v_add_co_u32_e32 v3, vcc, s22, v3
	v_addc_co_u32_e32 v4, vcc, v14, v4, vcc
	global_load_dword v3, v[3:4], off
	s_add_i32 s41, s41, 1
	s_cmp_eq_u32 s34, s41
	v_add_u32_e32 v2, s35, v2
	s_waitcnt vmcnt(0)
	v_fmac_f32_e32 v12, v13, v3
	s_cbranch_scc1 .LBB12_9
.LBB12_12:                              ;   Parent Loop BB12_3 Depth=1
                                        ;     Parent Loop BB12_10 Depth=2
                                        ; =>    This Inner Loop Header: Depth=3
	s_and_b64 vcc, exec, s[16:17]
	s_cbranch_vccz .LBB12_14
; %bb.13:                               ;   in Loop: Header=BB12_12 Depth=3
	s_add_i32 s30, s41, s40
	s_mul_i32 s30, s30, s34
	v_add_u32_e32 v3, s30, v11
	s_cbranch_execnz .LBB12_11
	s_branch .LBB12_15
.LBB12_14:                              ;   in Loop: Header=BB12_12 Depth=3
                                        ; implicit-def: $vgpr3
.LBB12_15:                              ;   in Loop: Header=BB12_12 Depth=3
	v_add_u32_e32 v3, s41, v10
	s_branch .LBB12_11
.LBB12_16:                              ;   in Loop: Header=BB12_3 Depth=1
	s_or_b64 exec, exec, s[26:27]
	s_add_i32 s28, s4, -1
	s_cmp_le_i32 s4, s15
	v_subrev_u32_e32 v7, s38, v7
	s_cselect_b64 s[26:27], -1, 0
	s_mov_b32 s4, s28
	s_and_b64 vcc, exec, s[26:27]
	s_cbranch_vccz .LBB12_3
	s_branch .LBB12_18
.LBB12_17:
	s_mov_b32 s5, s24
.LBB12_18:
	s_cmp_lt_i32 s6, s24
	s_cselect_b64 s[2:3], -1, 0
	s_cmp_eq_u32 s6, s5
	s_cselect_b64 s[0:1], -1, 0
	v_cmp_gt_i32_e32 vcc, s25, v1
	s_and_b64 s[0:1], vcc, s[0:1]
	s_cmp_gt_i32 s34, 0
	s_cselect_b64 s[16:17], -1, 0
	s_and_b64 s[0:1], s[0:1], s[16:17]
	s_and_b64 s[18:19], s[0:1], s[2:3]
	s_mov_b64 s[0:1], 0
	s_and_saveexec_b64 s[16:17], s[18:19]
	s_cbranch_execz .LBB12_34
; %bb.19:
	v_add_u32_e32 v2, s7, v5
	s_cmp_eq_u32 s13, 0
	v_mul_lo_u32 v2, s35, v2
	s_cselect_b64 s[0:1], -1, 0
	s_cmp_lg_u32 s14, 0
	s_cselect_b64 s[14:15], -1, 0
	s_mul_i32 s13, s4, s34
	s_add_i32 s4, s4, 1
	s_mul_i32 s4, s34, s4
	v_add3_u32 v6, v6, v2, s36
	s_add_i32 s4, s4, -1
	v_cndmask_b32_e64 v2, 0, 1, s[0:1]
	s_lshl_b32 s28, s35, 5
	s_mul_i32 s29, s34, s4
	s_mov_b64 s[4:5], 0
	v_cmp_ne_u32_e64 s[0:1], 1, v2
	v_mov_b32_e32 v7, 0
	v_mov_b32_e32 v8, s23
	s_mov_b32 s30, s34
	s_add_i32 s31, s30, -1
	s_and_b64 vcc, exec, s[0:1]
	v_mov_b32_e32 v4, 1.0
	s_cbranch_vccnz .LBB12_21
.LBB12_20:
	s_add_i32 s18, s31, s13
	s_mul_i32 s18, s18, s34
	s_add_i32 s18, s18, s31
	s_ashr_i32 s19, s18, 31
	s_lshl_b64 s[18:19], s[18:19], 2
	s_add_u32 s18, s10, s18
	s_addc_u32 s19, s11, s19
	global_load_dword v4, v7, s[18:19]
.LBB12_21:                              ; =>This Loop Header: Depth=1
                                        ;     Child Loop BB12_26 Depth 2
	s_add_i32 s18, s31, s7
	s_mul_i32 s18, s18, s35
	v_add_u32_e32 v2, s18, v1
	v_ashrrev_i32_e32 v3, 31, v2
	v_lshlrev_b64 v[2:3], 2, v[2:3]
	v_add_co_u32_e32 v2, vcc, s22, v2
	v_addc_co_u32_e32 v3, vcc, v8, v3, vcc
	global_load_dword v9, v[2:3], off
	s_waitcnt vmcnt(1)
	v_cmp_eq_f32_e32 vcc, 0, v4
	s_cbranch_vccnz .LBB12_23
; %bb.22:                               ;   in Loop: Header=BB12_21 Depth=1
	s_waitcnt vmcnt(0)
	v_div_scale_f32 v10, s[18:19], v4, v4, v9
	v_div_scale_f32 v11, vcc, v9, v4, v9
	v_rcp_f32_e32 v12, v10
	v_fma_f32 v13, -v10, v12, 1.0
	v_fmac_f32_e32 v12, v13, v12
	v_mul_f32_e32 v13, v11, v12
	v_fma_f32 v14, -v10, v13, v11
	v_fmac_f32_e32 v13, v14, v12
	v_fma_f32 v10, -v10, v13, v11
	v_div_fmas_f32 v10, v10, v12, v13
	v_div_fixup_f32 v9, v10, v4, v9
	global_store_dword v[2:3], v9, off
	v_cmp_gt_i32_e32 vcc, s31, v5
	s_and_saveexec_b64 s[18:19], vcc
	s_cbranch_execnz .LBB12_24
	s_branch .LBB12_30
.LBB12_23:                              ;   in Loop: Header=BB12_21 Depth=1
	s_mov_b64 s[4:5], -1
	v_cmp_gt_i32_e32 vcc, s31, v5
	s_and_saveexec_b64 s[18:19], vcc
	s_cbranch_execz .LBB12_30
.LBB12_24:                              ;   in Loop: Header=BB12_21 Depth=1
	s_mov_b64 s[24:25], 0
	v_mov_b32_e32 v2, v6
	v_mov_b32_e32 v10, v5
	s_branch .LBB12_26
.LBB12_25:                              ;   in Loop: Header=BB12_26 Depth=2
	v_ashrrev_i32_e32 v4, 31, v3
	v_lshlrev_b64 v[3:4], 2, v[3:4]
	v_mov_b32_e32 v11, s11
	v_add_co_u32_e32 v3, vcc, s10, v3
	v_addc_co_u32_e32 v4, vcc, v11, v4, vcc
	global_load_dword v11, v[3:4], off
	v_ashrrev_i32_e32 v3, 31, v2
	v_lshlrev_b64 v[3:4], 2, v[2:3]
	v_mov_b32_e32 v12, s23
	v_add_co_u32_e32 v3, vcc, s22, v3
	v_addc_co_u32_e32 v4, vcc, v12, v4, vcc
	global_load_dword v12, v[3:4], off
	v_add_u32_e32 v10, 32, v10
	v_cmp_le_i32_e32 vcc, s31, v10
	s_or_b64 s[24:25], vcc, s[24:25]
	v_add_u32_e32 v2, s28, v2
	s_waitcnt vmcnt(0)
	v_fma_f32 v11, -v9, v11, v12
	global_store_dword v[3:4], v11, off
	s_andn2_b64 exec, exec, s[24:25]
	s_cbranch_execz .LBB12_30
.LBB12_26:                              ;   Parent Loop BB12_21 Depth=1
                                        ; =>  This Inner Loop Header: Depth=2
	s_and_b64 vcc, exec, s[14:15]
	s_cbranch_vccz .LBB12_28
; %bb.27:                               ;   in Loop: Header=BB12_26 Depth=2
	v_add_u32_e32 v3, s29, v10
	s_cbranch_execnz .LBB12_25
	s_branch .LBB12_29
.LBB12_28:                              ;   in Loop: Header=BB12_26 Depth=2
                                        ; implicit-def: $vgpr3
.LBB12_29:                              ;   in Loop: Header=BB12_26 Depth=2
	v_add_u32_e32 v3, s13, v10
	v_mul_lo_u32 v3, v3, s34
	v_add_u32_e32 v3, s31, v3
	s_branch .LBB12_25
.LBB12_30:                              ;   in Loop: Header=BB12_21 Depth=1
	s_or_b64 exec, exec, s[18:19]
; %bb.31:                               ;   in Loop: Header=BB12_21 Depth=1
	s_sub_i32 s29, s29, s34
	s_cmp_lt_i32 s30, 2
	s_cbranch_scc1 .LBB12_33
; %bb.32:                               ;   in Loop: Header=BB12_21 Depth=1
	s_mov_b32 s30, s31
	s_add_i32 s31, s30, -1
	s_and_b64 vcc, exec, s[0:1]
	v_mov_b32_e32 v4, 1.0
	s_cbranch_vccnz .LBB12_21
	s_branch .LBB12_20
.LBB12_33:
	s_and_b64 s[0:1], s[4:5], exec
.LBB12_34:
	s_or_b64 exec, exec, s[16:17]
	v_cmp_eq_u32_e32 vcc, 0, v0
	s_and_b64 s[2:3], vcc, s[2:3]
	s_waitcnt vmcnt(0)
	buffer_wbinvl1_vol
	s_barrier
	s_and_saveexec_b64 s[4:5], s[2:3]
	s_cbranch_execz .LBB12_38
; %bb.35:
	s_add_i32 s2, s6, s33
	s_ashr_i32 s3, s2, 31
	s_lshl_b64 s[2:3], s[2:3], 2
	s_add_u32 s2, s8, s2
	s_addc_u32 s3, s9, s3
	v_mov_b32_e32 v0, 0
	v_mov_b32_e32 v1, 1
	global_store_dword v0, v1, s[2:3]
	s_and_b64 exec, exec, s[0:1]
	s_cbranch_execz .LBB12_38
; %bb.36:
	v_mbcnt_lo_u32_b32 v0, exec_lo, 0
	v_mbcnt_hi_u32_b32 v0, exec_hi, v0
	v_cmp_eq_u32_e32 vcc, 0, v0
	s_and_b64 exec, exec, vcc
	s_cbranch_execz .LBB12_38
; %bb.37:
	s_add_i32 s0, s6, s12
	v_mov_b32_e32 v0, 0
	v_mov_b32_e32 v1, s0
	global_atomic_smin v0, v1, s[20:21]
.LBB12_38:
	s_endpgm
	.section	.rodata,"a",@progbits
	.p2align	6, 0x0
	.amdhsa_kernel _ZN9rocsparseL24bsrsm_upper_large_kernelILj512ELj16ELb0EfEEviiPKiS2_PKT2_iPS3_iPiS2_S7_21rocsparse_index_base_20rocsparse_diag_type_20rocsparse_direction_
		.amdhsa_group_segment_fixed_size 0
		.amdhsa_private_segment_fixed_size 0
		.amdhsa_kernarg_size 92
		.amdhsa_user_sgpr_count 6
		.amdhsa_user_sgpr_private_segment_buffer 1
		.amdhsa_user_sgpr_dispatch_ptr 0
		.amdhsa_user_sgpr_queue_ptr 0
		.amdhsa_user_sgpr_kernarg_segment_ptr 1
		.amdhsa_user_sgpr_dispatch_id 0
		.amdhsa_user_sgpr_flat_scratch_init 0
		.amdhsa_user_sgpr_private_segment_size 0
		.amdhsa_uses_dynamic_stack 0
		.amdhsa_system_sgpr_private_segment_wavefront_offset 0
		.amdhsa_system_sgpr_workgroup_id_x 1
		.amdhsa_system_sgpr_workgroup_id_y 0
		.amdhsa_system_sgpr_workgroup_id_z 0
		.amdhsa_system_sgpr_workgroup_info 0
		.amdhsa_system_vgpr_workitem_id 0
		.amdhsa_next_free_vgpr 15
		.amdhsa_next_free_sgpr 42
		.amdhsa_reserve_vcc 1
		.amdhsa_reserve_flat_scratch 0
		.amdhsa_float_round_mode_32 0
		.amdhsa_float_round_mode_16_64 0
		.amdhsa_float_denorm_mode_32 3
		.amdhsa_float_denorm_mode_16_64 3
		.amdhsa_dx10_clamp 1
		.amdhsa_ieee_mode 1
		.amdhsa_fp16_overflow 0
		.amdhsa_exception_fp_ieee_invalid_op 0
		.amdhsa_exception_fp_denorm_src 0
		.amdhsa_exception_fp_ieee_div_zero 0
		.amdhsa_exception_fp_ieee_overflow 0
		.amdhsa_exception_fp_ieee_underflow 0
		.amdhsa_exception_fp_ieee_inexact 0
		.amdhsa_exception_int_div_zero 0
	.end_amdhsa_kernel
	.section	.text._ZN9rocsparseL24bsrsm_upper_large_kernelILj512ELj16ELb0EfEEviiPKiS2_PKT2_iPS3_iPiS2_S7_21rocsparse_index_base_20rocsparse_diag_type_20rocsparse_direction_,"axG",@progbits,_ZN9rocsparseL24bsrsm_upper_large_kernelILj512ELj16ELb0EfEEviiPKiS2_PKT2_iPS3_iPiS2_S7_21rocsparse_index_base_20rocsparse_diag_type_20rocsparse_direction_,comdat
.Lfunc_end12:
	.size	_ZN9rocsparseL24bsrsm_upper_large_kernelILj512ELj16ELb0EfEEviiPKiS2_PKT2_iPS3_iPiS2_S7_21rocsparse_index_base_20rocsparse_diag_type_20rocsparse_direction_, .Lfunc_end12-_ZN9rocsparseL24bsrsm_upper_large_kernelILj512ELj16ELb0EfEEviiPKiS2_PKT2_iPS3_iPiS2_S7_21rocsparse_index_base_20rocsparse_diag_type_20rocsparse_direction_
                                        ; -- End function
	.set _ZN9rocsparseL24bsrsm_upper_large_kernelILj512ELj16ELb0EfEEviiPKiS2_PKT2_iPS3_iPiS2_S7_21rocsparse_index_base_20rocsparse_diag_type_20rocsparse_direction_.num_vgpr, 15
	.set _ZN9rocsparseL24bsrsm_upper_large_kernelILj512ELj16ELb0EfEEviiPKiS2_PKT2_iPS3_iPiS2_S7_21rocsparse_index_base_20rocsparse_diag_type_20rocsparse_direction_.num_agpr, 0
	.set _ZN9rocsparseL24bsrsm_upper_large_kernelILj512ELj16ELb0EfEEviiPKiS2_PKT2_iPS3_iPiS2_S7_21rocsparse_index_base_20rocsparse_diag_type_20rocsparse_direction_.numbered_sgpr, 42
	.set _ZN9rocsparseL24bsrsm_upper_large_kernelILj512ELj16ELb0EfEEviiPKiS2_PKT2_iPS3_iPiS2_S7_21rocsparse_index_base_20rocsparse_diag_type_20rocsparse_direction_.num_named_barrier, 0
	.set _ZN9rocsparseL24bsrsm_upper_large_kernelILj512ELj16ELb0EfEEviiPKiS2_PKT2_iPS3_iPiS2_S7_21rocsparse_index_base_20rocsparse_diag_type_20rocsparse_direction_.private_seg_size, 0
	.set _ZN9rocsparseL24bsrsm_upper_large_kernelILj512ELj16ELb0EfEEviiPKiS2_PKT2_iPS3_iPiS2_S7_21rocsparse_index_base_20rocsparse_diag_type_20rocsparse_direction_.uses_vcc, 1
	.set _ZN9rocsparseL24bsrsm_upper_large_kernelILj512ELj16ELb0EfEEviiPKiS2_PKT2_iPS3_iPiS2_S7_21rocsparse_index_base_20rocsparse_diag_type_20rocsparse_direction_.uses_flat_scratch, 0
	.set _ZN9rocsparseL24bsrsm_upper_large_kernelILj512ELj16ELb0EfEEviiPKiS2_PKT2_iPS3_iPiS2_S7_21rocsparse_index_base_20rocsparse_diag_type_20rocsparse_direction_.has_dyn_sized_stack, 0
	.set _ZN9rocsparseL24bsrsm_upper_large_kernelILj512ELj16ELb0EfEEviiPKiS2_PKT2_iPS3_iPiS2_S7_21rocsparse_index_base_20rocsparse_diag_type_20rocsparse_direction_.has_recursion, 0
	.set _ZN9rocsparseL24bsrsm_upper_large_kernelILj512ELj16ELb0EfEEviiPKiS2_PKT2_iPS3_iPiS2_S7_21rocsparse_index_base_20rocsparse_diag_type_20rocsparse_direction_.has_indirect_call, 0
	.section	.AMDGPU.csdata,"",@progbits
; Kernel info:
; codeLenInByte = 1476
; TotalNumSgprs: 46
; NumVgprs: 15
; ScratchSize: 0
; MemoryBound: 0
; FloatMode: 240
; IeeeMode: 1
; LDSByteSize: 0 bytes/workgroup (compile time only)
; SGPRBlocks: 5
; VGPRBlocks: 3
; NumSGPRsForWavesPerEU: 46
; NumVGPRsForWavesPerEU: 15
; Occupancy: 10
; WaveLimiterHint : 1
; COMPUTE_PGM_RSRC2:SCRATCH_EN: 0
; COMPUTE_PGM_RSRC2:USER_SGPR: 6
; COMPUTE_PGM_RSRC2:TRAP_HANDLER: 0
; COMPUTE_PGM_RSRC2:TGID_X_EN: 1
; COMPUTE_PGM_RSRC2:TGID_Y_EN: 0
; COMPUTE_PGM_RSRC2:TGID_Z_EN: 0
; COMPUTE_PGM_RSRC2:TIDIG_COMP_CNT: 0
	.section	.text._ZN9rocsparseL24bsrsm_lower_large_kernelILj512ELj16ELb0EfEEviiPKiS2_PKT2_iPS3_iPiS2_S7_21rocsparse_index_base_20rocsparse_diag_type_20rocsparse_direction_,"axG",@progbits,_ZN9rocsparseL24bsrsm_lower_large_kernelILj512ELj16ELb0EfEEviiPKiS2_PKT2_iPS3_iPiS2_S7_21rocsparse_index_base_20rocsparse_diag_type_20rocsparse_direction_,comdat
	.globl	_ZN9rocsparseL24bsrsm_lower_large_kernelILj512ELj16ELb0EfEEviiPKiS2_PKT2_iPS3_iPiS2_S7_21rocsparse_index_base_20rocsparse_diag_type_20rocsparse_direction_ ; -- Begin function _ZN9rocsparseL24bsrsm_lower_large_kernelILj512ELj16ELb0EfEEviiPKiS2_PKT2_iPS3_iPiS2_S7_21rocsparse_index_base_20rocsparse_diag_type_20rocsparse_direction_
	.p2align	8
	.type	_ZN9rocsparseL24bsrsm_lower_large_kernelILj512ELj16ELb0EfEEviiPKiS2_PKT2_iPS3_iPiS2_S7_21rocsparse_index_base_20rocsparse_diag_type_20rocsparse_direction_,@function
_ZN9rocsparseL24bsrsm_lower_large_kernelILj512ELj16ELb0EfEEviiPKiS2_PKT2_iPS3_iPiS2_S7_21rocsparse_index_base_20rocsparse_diag_type_20rocsparse_direction_: ; @_ZN9rocsparseL24bsrsm_lower_large_kernelILj512ELj16ELb0EfEEviiPKiS2_PKT2_iPS3_iPiS2_S7_21rocsparse_index_base_20rocsparse_diag_type_20rocsparse_direction_
; %bb.0:
	s_load_dwordx2 s[24:25], s[4:5], 0x0
	s_load_dwordx4 s[16:19], s[4:5], 0x8
	s_load_dwordx4 s[8:11], s[4:5], 0x38
	s_load_dwordx2 s[20:21], s[4:5], 0x48
	v_lshrrev_b32_e32 v6, 5, v0
	v_and_b32_e32 v5, 31, v0
	s_waitcnt lgkmcnt(0)
	v_cvt_f32_u32_e32 v1, s24
	s_sub_i32 s0, 0, s24
	v_rcp_iflag_f32_e32 v1, v1
	v_mul_f32_e32 v1, 0x4f7ffffe, v1
	v_cvt_u32_f32_e32 v1, v1
	v_readfirstlane_b32 s1, v1
	s_mul_i32 s0, s0, s1
	s_mul_hi_u32 s0, s1, s0
	s_add_i32 s1, s1, s0
	s_mul_hi_u32 s0, s6, s1
	s_mul_i32 s1, s0, s24
	s_sub_i32 s1, s6, s1
	s_add_i32 s2, s0, 1
	s_sub_i32 s3, s1, s24
	s_cmp_ge_u32 s1, s24
	s_cselect_b32 s0, s2, s0
	s_cselect_b32 s1, s3, s1
	s_add_i32 s2, s0, 1
	s_cmp_ge_u32 s1, s24
	s_cselect_b32 s26, s2, s0
	s_mul_i32 s33, s26, s24
	s_sub_i32 s0, s6, s33
	s_ashr_i32 s1, s0, 31
	s_lshl_b64 s[0:1], s[0:1], 2
	s_add_u32 s0, s10, s0
	s_addc_u32 s1, s11, s1
	s_load_dword s6, s[0:1], 0x0
	s_load_dwordx2 s[10:11], s[4:5], 0x18
	s_load_dword s34, s[4:5], 0x20
	s_load_dwordx2 s[22:23], s[4:5], 0x28
	s_load_dword s35, s[4:5], 0x30
	s_load_dwordx4 s[12:15], s[4:5], 0x50
	s_waitcnt lgkmcnt(0)
	s_ashr_i32 s7, s6, 31
	s_lshl_b64 s[0:1], s[6:7], 2
	s_add_u32 s0, s16, s0
	s_addc_u32 s1, s17, s1
	s_load_dwordx2 s[2:3], s[0:1], 0x0
	s_lshl_b32 s36, s26, 4
	v_or_b32_e32 v1, s36, v6
	s_mul_i32 s7, s6, s34
	v_cmp_gt_i32_e32 vcc, s25, v1
	s_waitcnt lgkmcnt(0)
	s_sub_i32 s4, s2, s12
	s_cmp_ge_i32 s2, s3
	s_mul_i32 s37, s34, s34
	v_cmp_eq_u32_e64 s[0:1], 0, v0
	s_cbranch_scc1 .LBB13_17
; %bb.1:
	s_mul_i32 s5, s34, s4
	v_add_u32_e32 v2, s5, v5
	v_mul_lo_u32 v7, s34, v2
	s_sub_i32 s15, s3, s12
	v_cmp_gt_i32_e64 s[2:3], s34, v5
	s_cmp_lg_u32 s14, 0
	s_cselect_b64 s[16:17], -1, 0
	s_and_b64 s[2:3], vcc, s[2:3]
	s_mul_i32 s38, s35, s34
	s_lshl_b32 s39, s34, 5
	v_mov_b32_e32 v8, 0
	s_branch .LBB13_3
.LBB13_2:                               ;   in Loop: Header=BB13_3 Depth=1
                                        ; implicit-def: $vgpr7
	s_and_b64 vcc, exec, s[26:27]
	s_cbranch_vccnz .LBB13_18
.LBB13_3:                               ; =>This Loop Header: Depth=1
                                        ;     Child Loop BB13_6 Depth 2
                                        ;     Child Loop BB13_10 Depth 2
                                        ;       Child Loop BB13_12 Depth 3
	s_ashr_i32 s5, s4, 31
	s_lshl_b64 s[26:27], s[4:5], 2
	s_add_u32 s26, s18, s26
	s_addc_u32 s27, s19, s27
	global_load_dword v2, v8, s[26:27]
	s_mov_b64 s[26:27], -1
	s_waitcnt vmcnt(0)
	v_readfirstlane_b32 s5, v2
	s_sub_i32 s5, s5, s12
	s_cmp_ge_i32 s5, s6
	s_cbranch_scc1 .LBB13_2
; %bb.4:                                ;   in Loop: Header=BB13_3 Depth=1
	s_and_saveexec_b64 s[26:27], s[0:1]
	s_cbranch_execz .LBB13_7
; %bb.5:                                ;   in Loop: Header=BB13_3 Depth=1
	s_add_i32 s28, s5, s33
	s_ashr_i32 s29, s28, 31
	s_lshl_b64 s[28:29], s[28:29], 2
	s_add_u32 s28, s8, s28
	s_addc_u32 s29, s9, s29
	global_load_dword v2, v8, s[28:29] glc
	s_waitcnt vmcnt(0)
	v_cmp_ne_u32_e32 vcc, 0, v2
	s_cbranch_vccnz .LBB13_7
.LBB13_6:                               ;   Parent Loop BB13_3 Depth=1
                                        ; =>  This Inner Loop Header: Depth=2
	global_load_dword v2, v8, s[28:29] glc
	s_waitcnt vmcnt(0)
	v_cmp_eq_u32_e32 vcc, 0, v2
	s_cbranch_vccnz .LBB13_6
.LBB13_7:                               ;   in Loop: Header=BB13_3 Depth=1
	s_or_b64 exec, exec, s[26:27]
	buffer_wbinvl1_vol
	s_barrier
	s_and_saveexec_b64 s[26:27], s[2:3]
	s_cbranch_execz .LBB13_16
; %bb.8:                                ;   in Loop: Header=BB13_3 Depth=1
	s_mul_i32 s28, s38, s5
	s_mul_i32 s40, s4, s34
	v_add_u32_e32 v9, s28, v1
	s_mov_b64 s[28:29], 0
	v_mov_b32_e32 v10, v7
	v_mov_b32_e32 v11, v5
	s_branch .LBB13_10
.LBB13_9:                               ;   in Loop: Header=BB13_10 Depth=2
	v_add_u32_e32 v2, s7, v11
	v_mad_u64_u32 v[2:3], s[30:31], v2, s35, v[1:2]
	v_mov_b32_e32 v4, s23
	v_add_u32_e32 v11, 32, v11
	v_ashrrev_i32_e32 v3, 31, v2
	v_lshlrev_b64 v[2:3], 2, v[2:3]
	v_add_u32_e32 v10, s39, v10
	v_add_co_u32_e32 v2, vcc, s22, v2
	v_addc_co_u32_e32 v3, vcc, v4, v3, vcc
	global_load_dword v4, v[2:3], off
	v_cmp_le_i32_e32 vcc, s34, v11
	s_or_b64 s[28:29], vcc, s[28:29]
	s_waitcnt vmcnt(0)
	v_sub_f32_e32 v4, v4, v12
	global_store_dword v[2:3], v4, off
	s_andn2_b64 exec, exec, s[28:29]
	s_cbranch_execz .LBB13_16
.LBB13_10:                              ;   Parent Loop BB13_3 Depth=1
                                        ; =>  This Loop Header: Depth=2
                                        ;       Child Loop BB13_12 Depth 3
	v_mov_b32_e32 v12, 0
	s_mov_b32 s41, 0
	v_mov_b32_e32 v2, v9
	s_branch .LBB13_12
.LBB13_11:                              ;   in Loop: Header=BB13_12 Depth=3
	v_ashrrev_i32_e32 v4, 31, v3
	v_lshlrev_b64 v[3:4], 2, v[3:4]
	v_mov_b32_e32 v13, s11
	v_add_co_u32_e32 v3, vcc, s10, v3
	v_addc_co_u32_e32 v4, vcc, v13, v4, vcc
	global_load_dword v13, v[3:4], off
	v_ashrrev_i32_e32 v3, 31, v2
	v_lshlrev_b64 v[3:4], 2, v[2:3]
	v_mov_b32_e32 v14, s23
	v_add_co_u32_e32 v3, vcc, s22, v3
	v_addc_co_u32_e32 v4, vcc, v14, v4, vcc
	global_load_dword v3, v[3:4], off
	s_add_i32 s41, s41, 1
	s_cmp_eq_u32 s34, s41
	v_add_u32_e32 v2, s35, v2
	s_waitcnt vmcnt(0)
	v_fmac_f32_e32 v12, v13, v3
	s_cbranch_scc1 .LBB13_9
.LBB13_12:                              ;   Parent Loop BB13_3 Depth=1
                                        ;     Parent Loop BB13_10 Depth=2
                                        ; =>    This Inner Loop Header: Depth=3
	s_and_b64 vcc, exec, s[16:17]
	s_cbranch_vccz .LBB13_14
; %bb.13:                               ;   in Loop: Header=BB13_12 Depth=3
	s_add_i32 s30, s41, s40
	s_mul_i32 s30, s30, s34
	v_add_u32_e32 v3, s30, v11
	s_cbranch_execnz .LBB13_11
	s_branch .LBB13_15
.LBB13_14:                              ;   in Loop: Header=BB13_12 Depth=3
                                        ; implicit-def: $vgpr3
.LBB13_15:                              ;   in Loop: Header=BB13_12 Depth=3
	v_add_u32_e32 v3, s41, v10
	s_branch .LBB13_11
.LBB13_16:                              ;   in Loop: Header=BB13_3 Depth=1
	s_or_b64 exec, exec, s[26:27]
	s_add_i32 s4, s4, 1
	s_cmp_ge_i32 s4, s15
	v_add_u32_e32 v7, s37, v7
	s_cselect_b64 s[26:27], -1, 0
	s_and_b64 vcc, exec, s[26:27]
	s_cbranch_vccz .LBB13_3
	s_branch .LBB13_18
.LBB13_17:
	s_mov_b32 s5, s24
.LBB13_18:
	s_cmp_lt_i32 s6, s24
	s_cselect_b64 s[2:3], -1, 0
	s_cmp_eq_u32 s6, s5
	s_cselect_b64 s[0:1], -1, 0
	v_cmp_gt_i32_e32 vcc, s25, v1
	s_and_b64 s[0:1], vcc, s[0:1]
	s_cmp_gt_i32 s34, 0
	s_cselect_b64 s[16:17], -1, 0
	s_and_b64 s[0:1], s[0:1], s[16:17]
	s_mov_b32 s28, 0
	s_and_b64 s[18:19], s[0:1], s[2:3]
	s_mov_b64 s[0:1], 0
	s_and_saveexec_b64 s[16:17], s[18:19]
	s_cbranch_execz .LBB13_33
; %bb.19:
	v_add_u32_e32 v2, s7, v5
	v_mul_lo_u32 v2, s35, v2
	s_cmp_eq_u32 s13, 0
	s_cselect_b64 s[0:1], -1, 0
	s_cmp_lg_u32 s14, 0
	v_add_u32_e32 v2, s35, v2
	v_add3_u32 v6, v6, v2, s36
	v_cndmask_b32_e64 v2, 0, 1, s[0:1]
	s_cselect_b64 s[14:15], -1, 0
	v_add_u32_e32 v5, 1, v5
	s_mul_i32 s13, s4, s34
	s_lshl_b32 s29, s35, 5
	s_mul_i32 s30, s4, s37
	s_add_i32 s31, s34, 1
	s_mov_b64 s[4:5], 0
	v_cmp_ne_u32_e64 s[0:1], 1, v2
	v_mov_b32_e32 v7, 0
	v_mov_b32_e32 v8, s23
	s_branch .LBB13_21
.LBB13_20:                              ;   in Loop: Header=BB13_21 Depth=1
	s_or_b64 exec, exec, s[18:19]
	s_add_i32 s28, s28, 1
	s_add_i32 s30, s30, s31
	s_cmp_eq_u32 s28, s34
	v_add_u32_e32 v6, s35, v6
	s_cbranch_scc1 .LBB13_32
.LBB13_21:                              ; =>This Loop Header: Depth=1
                                        ;     Child Loop BB13_28 Depth 2
	s_and_b64 vcc, exec, s[0:1]
	v_mov_b32_e32 v4, 1.0
	s_cbranch_vccnz .LBB13_23
; %bb.22:                               ;   in Loop: Header=BB13_21 Depth=1
	s_add_i32 s18, s28, s13
	s_mul_i32 s18, s18, s34
	s_add_i32 s18, s18, s28
	s_ashr_i32 s19, s18, 31
	s_lshl_b64 s[18:19], s[18:19], 2
	s_add_u32 s18, s10, s18
	s_addc_u32 s19, s11, s19
	global_load_dword v4, v7, s[18:19]
.LBB13_23:                              ;   in Loop: Header=BB13_21 Depth=1
	s_add_i32 s18, s28, s7
	s_mul_i32 s18, s18, s35
	v_add_u32_e32 v2, s18, v1
	v_ashrrev_i32_e32 v3, 31, v2
	v_lshlrev_b64 v[2:3], 2, v[2:3]
	v_add_co_u32_e32 v2, vcc, s22, v2
	v_addc_co_u32_e32 v3, vcc, v8, v3, vcc
	global_load_dword v9, v[2:3], off
	s_waitcnt vmcnt(1)
	v_cmp_eq_f32_e32 vcc, 0, v4
	s_cbranch_vccnz .LBB13_25
; %bb.24:                               ;   in Loop: Header=BB13_21 Depth=1
	s_waitcnt vmcnt(0)
	v_div_scale_f32 v10, s[18:19], v4, v4, v9
	v_div_scale_f32 v11, vcc, v9, v4, v9
	v_rcp_f32_e32 v12, v10
	v_fma_f32 v13, -v10, v12, 1.0
	v_fmac_f32_e32 v12, v13, v12
	v_mul_f32_e32 v13, v11, v12
	v_fma_f32 v14, -v10, v13, v11
	v_fmac_f32_e32 v13, v14, v12
	v_fma_f32 v10, -v10, v13, v11
	v_div_fmas_f32 v10, v10, v12, v13
	v_div_fixup_f32 v9, v10, v4, v9
	global_store_dword v[2:3], v9, off
	v_add_u32_e32 v10, s28, v5
	v_cmp_gt_i32_e32 vcc, s34, v10
	s_and_saveexec_b64 s[18:19], vcc
	s_cbranch_execz .LBB13_20
	s_branch .LBB13_26
.LBB13_25:                              ;   in Loop: Header=BB13_21 Depth=1
	s_mov_b64 s[4:5], -1
	v_add_u32_e32 v10, s28, v5
	v_cmp_gt_i32_e32 vcc, s34, v10
	s_and_saveexec_b64 s[18:19], vcc
	s_cbranch_execz .LBB13_20
.LBB13_26:                              ;   in Loop: Header=BB13_21 Depth=1
	s_mov_b64 s[24:25], 0
	v_mov_b32_e32 v2, v6
	v_mov_b32_e32 v11, v5
	s_branch .LBB13_28
.LBB13_27:                              ;   in Loop: Header=BB13_28 Depth=2
	v_ashrrev_i32_e32 v4, 31, v3
	v_lshlrev_b64 v[3:4], 2, v[3:4]
	v_mov_b32_e32 v12, s11
	v_add_co_u32_e32 v3, vcc, s10, v3
	v_addc_co_u32_e32 v4, vcc, v12, v4, vcc
	global_load_dword v12, v[3:4], off
	v_ashrrev_i32_e32 v3, 31, v2
	v_lshlrev_b64 v[3:4], 2, v[2:3]
	v_mov_b32_e32 v13, s23
	v_add_co_u32_e32 v3, vcc, s22, v3
	v_addc_co_u32_e32 v4, vcc, v13, v4, vcc
	global_load_dword v13, v[3:4], off
	v_add_u32_e32 v11, 32, v11
	v_add_u32_e32 v14, s28, v11
	v_cmp_le_i32_e32 vcc, s34, v14
	v_add_u32_e32 v10, 32, v10
	s_or_b64 s[24:25], vcc, s[24:25]
	v_add_u32_e32 v2, s29, v2
	s_waitcnt vmcnt(0)
	v_fma_f32 v12, -v9, v12, v13
	global_store_dword v[3:4], v12, off
	s_andn2_b64 exec, exec, s[24:25]
	s_cbranch_execz .LBB13_20
.LBB13_28:                              ;   Parent Loop BB13_21 Depth=1
                                        ; =>  This Inner Loop Header: Depth=2
	s_and_b64 vcc, exec, s[14:15]
	s_cbranch_vccz .LBB13_30
; %bb.29:                               ;   in Loop: Header=BB13_28 Depth=2
	v_add_u32_e32 v3, s30, v11
	s_cbranch_execnz .LBB13_27
	s_branch .LBB13_31
.LBB13_30:                              ;   in Loop: Header=BB13_28 Depth=2
                                        ; implicit-def: $vgpr3
.LBB13_31:                              ;   in Loop: Header=BB13_28 Depth=2
	v_add_u32_e32 v3, s13, v10
	v_mul_lo_u32 v3, v3, s34
	v_add_u32_e32 v3, s28, v3
	s_branch .LBB13_27
.LBB13_32:
	s_and_b64 s[0:1], s[4:5], exec
.LBB13_33:
	s_or_b64 exec, exec, s[16:17]
	v_cmp_eq_u32_e32 vcc, 0, v0
	s_and_b64 s[2:3], vcc, s[2:3]
	s_waitcnt vmcnt(0)
	buffer_wbinvl1_vol
	s_barrier
	s_and_saveexec_b64 s[4:5], s[2:3]
	s_cbranch_execz .LBB13_37
; %bb.34:
	s_add_i32 s2, s6, s33
	s_ashr_i32 s3, s2, 31
	s_lshl_b64 s[2:3], s[2:3], 2
	s_add_u32 s2, s8, s2
	s_addc_u32 s3, s9, s3
	v_mov_b32_e32 v0, 0
	v_mov_b32_e32 v1, 1
	global_store_dword v0, v1, s[2:3]
	s_and_b64 exec, exec, s[0:1]
	s_cbranch_execz .LBB13_37
; %bb.35:
	v_mbcnt_lo_u32_b32 v0, exec_lo, 0
	v_mbcnt_hi_u32_b32 v0, exec_hi, v0
	v_cmp_eq_u32_e32 vcc, 0, v0
	s_and_b64 exec, exec, vcc
	s_cbranch_execz .LBB13_37
; %bb.36:
	s_add_i32 s0, s6, s12
	v_mov_b32_e32 v0, 0
	v_mov_b32_e32 v1, s0
	global_atomic_smin v0, v1, s[20:21]
.LBB13_37:
	s_endpgm
	.section	.rodata,"a",@progbits
	.p2align	6, 0x0
	.amdhsa_kernel _ZN9rocsparseL24bsrsm_lower_large_kernelILj512ELj16ELb0EfEEviiPKiS2_PKT2_iPS3_iPiS2_S7_21rocsparse_index_base_20rocsparse_diag_type_20rocsparse_direction_
		.amdhsa_group_segment_fixed_size 0
		.amdhsa_private_segment_fixed_size 0
		.amdhsa_kernarg_size 92
		.amdhsa_user_sgpr_count 6
		.amdhsa_user_sgpr_private_segment_buffer 1
		.amdhsa_user_sgpr_dispatch_ptr 0
		.amdhsa_user_sgpr_queue_ptr 0
		.amdhsa_user_sgpr_kernarg_segment_ptr 1
		.amdhsa_user_sgpr_dispatch_id 0
		.amdhsa_user_sgpr_flat_scratch_init 0
		.amdhsa_user_sgpr_private_segment_size 0
		.amdhsa_uses_dynamic_stack 0
		.amdhsa_system_sgpr_private_segment_wavefront_offset 0
		.amdhsa_system_sgpr_workgroup_id_x 1
		.amdhsa_system_sgpr_workgroup_id_y 0
		.amdhsa_system_sgpr_workgroup_id_z 0
		.amdhsa_system_sgpr_workgroup_info 0
		.amdhsa_system_vgpr_workitem_id 0
		.amdhsa_next_free_vgpr 15
		.amdhsa_next_free_sgpr 42
		.amdhsa_reserve_vcc 1
		.amdhsa_reserve_flat_scratch 0
		.amdhsa_float_round_mode_32 0
		.amdhsa_float_round_mode_16_64 0
		.amdhsa_float_denorm_mode_32 3
		.amdhsa_float_denorm_mode_16_64 3
		.amdhsa_dx10_clamp 1
		.amdhsa_ieee_mode 1
		.amdhsa_fp16_overflow 0
		.amdhsa_exception_fp_ieee_invalid_op 0
		.amdhsa_exception_fp_denorm_src 0
		.amdhsa_exception_fp_ieee_div_zero 0
		.amdhsa_exception_fp_ieee_overflow 0
		.amdhsa_exception_fp_ieee_underflow 0
		.amdhsa_exception_fp_ieee_inexact 0
		.amdhsa_exception_int_div_zero 0
	.end_amdhsa_kernel
	.section	.text._ZN9rocsparseL24bsrsm_lower_large_kernelILj512ELj16ELb0EfEEviiPKiS2_PKT2_iPS3_iPiS2_S7_21rocsparse_index_base_20rocsparse_diag_type_20rocsparse_direction_,"axG",@progbits,_ZN9rocsparseL24bsrsm_lower_large_kernelILj512ELj16ELb0EfEEviiPKiS2_PKT2_iPS3_iPiS2_S7_21rocsparse_index_base_20rocsparse_diag_type_20rocsparse_direction_,comdat
.Lfunc_end13:
	.size	_ZN9rocsparseL24bsrsm_lower_large_kernelILj512ELj16ELb0EfEEviiPKiS2_PKT2_iPS3_iPiS2_S7_21rocsparse_index_base_20rocsparse_diag_type_20rocsparse_direction_, .Lfunc_end13-_ZN9rocsparseL24bsrsm_lower_large_kernelILj512ELj16ELb0EfEEviiPKiS2_PKT2_iPS3_iPiS2_S7_21rocsparse_index_base_20rocsparse_diag_type_20rocsparse_direction_
                                        ; -- End function
	.set _ZN9rocsparseL24bsrsm_lower_large_kernelILj512ELj16ELb0EfEEviiPKiS2_PKT2_iPS3_iPiS2_S7_21rocsparse_index_base_20rocsparse_diag_type_20rocsparse_direction_.num_vgpr, 15
	.set _ZN9rocsparseL24bsrsm_lower_large_kernelILj512ELj16ELb0EfEEviiPKiS2_PKT2_iPS3_iPiS2_S7_21rocsparse_index_base_20rocsparse_diag_type_20rocsparse_direction_.num_agpr, 0
	.set _ZN9rocsparseL24bsrsm_lower_large_kernelILj512ELj16ELb0EfEEviiPKiS2_PKT2_iPS3_iPiS2_S7_21rocsparse_index_base_20rocsparse_diag_type_20rocsparse_direction_.numbered_sgpr, 42
	.set _ZN9rocsparseL24bsrsm_lower_large_kernelILj512ELj16ELb0EfEEviiPKiS2_PKT2_iPS3_iPiS2_S7_21rocsparse_index_base_20rocsparse_diag_type_20rocsparse_direction_.num_named_barrier, 0
	.set _ZN9rocsparseL24bsrsm_lower_large_kernelILj512ELj16ELb0EfEEviiPKiS2_PKT2_iPS3_iPiS2_S7_21rocsparse_index_base_20rocsparse_diag_type_20rocsparse_direction_.private_seg_size, 0
	.set _ZN9rocsparseL24bsrsm_lower_large_kernelILj512ELj16ELb0EfEEviiPKiS2_PKT2_iPS3_iPiS2_S7_21rocsparse_index_base_20rocsparse_diag_type_20rocsparse_direction_.uses_vcc, 1
	.set _ZN9rocsparseL24bsrsm_lower_large_kernelILj512ELj16ELb0EfEEviiPKiS2_PKT2_iPS3_iPiS2_S7_21rocsparse_index_base_20rocsparse_diag_type_20rocsparse_direction_.uses_flat_scratch, 0
	.set _ZN9rocsparseL24bsrsm_lower_large_kernelILj512ELj16ELb0EfEEviiPKiS2_PKT2_iPS3_iPiS2_S7_21rocsparse_index_base_20rocsparse_diag_type_20rocsparse_direction_.has_dyn_sized_stack, 0
	.set _ZN9rocsparseL24bsrsm_lower_large_kernelILj512ELj16ELb0EfEEviiPKiS2_PKT2_iPS3_iPiS2_S7_21rocsparse_index_base_20rocsparse_diag_type_20rocsparse_direction_.has_recursion, 0
	.set _ZN9rocsparseL24bsrsm_lower_large_kernelILj512ELj16ELb0EfEEviiPKiS2_PKT2_iPS3_iPiS2_S7_21rocsparse_index_base_20rocsparse_diag_type_20rocsparse_direction_.has_indirect_call, 0
	.section	.AMDGPU.csdata,"",@progbits
; Kernel info:
; codeLenInByte = 1468
; TotalNumSgprs: 46
; NumVgprs: 15
; ScratchSize: 0
; MemoryBound: 0
; FloatMode: 240
; IeeeMode: 1
; LDSByteSize: 0 bytes/workgroup (compile time only)
; SGPRBlocks: 5
; VGPRBlocks: 3
; NumSGPRsForWavesPerEU: 46
; NumVGPRsForWavesPerEU: 15
; Occupancy: 10
; WaveLimiterHint : 1
; COMPUTE_PGM_RSRC2:SCRATCH_EN: 0
; COMPUTE_PGM_RSRC2:USER_SGPR: 6
; COMPUTE_PGM_RSRC2:TRAP_HANDLER: 0
; COMPUTE_PGM_RSRC2:TGID_X_EN: 1
; COMPUTE_PGM_RSRC2:TGID_Y_EN: 0
; COMPUTE_PGM_RSRC2:TGID_Z_EN: 0
; COMPUTE_PGM_RSRC2:TIDIG_COMP_CNT: 0
	.section	.text._ZN9rocsparseL24bsrsm_upper_large_kernelILj1024ELj16ELb0EfEEviiPKiS2_PKT2_iPS3_iPiS2_S7_21rocsparse_index_base_20rocsparse_diag_type_20rocsparse_direction_,"axG",@progbits,_ZN9rocsparseL24bsrsm_upper_large_kernelILj1024ELj16ELb0EfEEviiPKiS2_PKT2_iPS3_iPiS2_S7_21rocsparse_index_base_20rocsparse_diag_type_20rocsparse_direction_,comdat
	.globl	_ZN9rocsparseL24bsrsm_upper_large_kernelILj1024ELj16ELb0EfEEviiPKiS2_PKT2_iPS3_iPiS2_S7_21rocsparse_index_base_20rocsparse_diag_type_20rocsparse_direction_ ; -- Begin function _ZN9rocsparseL24bsrsm_upper_large_kernelILj1024ELj16ELb0EfEEviiPKiS2_PKT2_iPS3_iPiS2_S7_21rocsparse_index_base_20rocsparse_diag_type_20rocsparse_direction_
	.p2align	8
	.type	_ZN9rocsparseL24bsrsm_upper_large_kernelILj1024ELj16ELb0EfEEviiPKiS2_PKT2_iPS3_iPiS2_S7_21rocsparse_index_base_20rocsparse_diag_type_20rocsparse_direction_,@function
_ZN9rocsparseL24bsrsm_upper_large_kernelILj1024ELj16ELb0EfEEviiPKiS2_PKT2_iPS3_iPiS2_S7_21rocsparse_index_base_20rocsparse_diag_type_20rocsparse_direction_: ; @_ZN9rocsparseL24bsrsm_upper_large_kernelILj1024ELj16ELb0EfEEviiPKiS2_PKT2_iPS3_iPiS2_S7_21rocsparse_index_base_20rocsparse_diag_type_20rocsparse_direction_
; %bb.0:
	s_load_dwordx2 s[24:25], s[4:5], 0x0
	s_load_dwordx4 s[16:19], s[4:5], 0x8
	s_load_dwordx4 s[8:11], s[4:5], 0x38
	s_load_dwordx2 s[20:21], s[4:5], 0x48
	v_lshrrev_b32_e32 v6, 6, v0
	v_and_b32_e32 v5, 63, v0
	s_waitcnt lgkmcnt(0)
	v_cvt_f32_u32_e32 v1, s24
	s_sub_i32 s0, 0, s24
	v_rcp_iflag_f32_e32 v1, v1
	v_mul_f32_e32 v1, 0x4f7ffffe, v1
	v_cvt_u32_f32_e32 v1, v1
	v_readfirstlane_b32 s1, v1
	s_mul_i32 s0, s0, s1
	s_mul_hi_u32 s0, s1, s0
	s_add_i32 s1, s1, s0
	s_mul_hi_u32 s0, s6, s1
	s_mul_i32 s1, s0, s24
	s_sub_i32 s1, s6, s1
	s_add_i32 s2, s0, 1
	s_sub_i32 s3, s1, s24
	s_cmp_ge_u32 s1, s24
	s_cselect_b32 s0, s2, s0
	s_cselect_b32 s1, s3, s1
	s_add_i32 s2, s0, 1
	s_cmp_ge_u32 s1, s24
	s_cselect_b32 s26, s2, s0
	s_mul_i32 s33, s26, s24
	s_sub_i32 s0, s6, s33
	s_ashr_i32 s1, s0, 31
	s_lshl_b64 s[0:1], s[0:1], 2
	s_add_u32 s0, s10, s0
	s_addc_u32 s1, s11, s1
	s_load_dword s6, s[0:1], 0x0
	s_load_dwordx2 s[10:11], s[4:5], 0x18
	s_load_dword s34, s[4:5], 0x20
	s_load_dwordx2 s[22:23], s[4:5], 0x28
	s_load_dword s35, s[4:5], 0x30
	s_load_dwordx4 s[12:15], s[4:5], 0x50
	s_waitcnt lgkmcnt(0)
	s_ashr_i32 s7, s6, 31
	s_lshl_b64 s[0:1], s[6:7], 2
	s_add_u32 s0, s16, s0
	s_addc_u32 s1, s17, s1
	s_load_dwordx2 s[2:3], s[0:1], 0x0
	s_lshl_b32 s36, s26, 4
	s_not_b32 s0, s12
	v_or_b32_e32 v1, s36, v6
	v_cmp_gt_i32_e32 vcc, s25, v1
	s_waitcnt lgkmcnt(0)
	s_sub_i32 s15, s2, s12
	s_add_i32 s4, s3, s0
	s_cmp_lt_i32 s4, s15
	s_mul_i32 s7, s6, s34
	v_cmp_eq_u32_e64 s[0:1], 0, v0
	s_cbranch_scc1 .LBB14_17
; %bb.1:
	s_mul_i32 s5, s34, s4
	v_add_u32_e32 v2, s5, v5
	v_mul_lo_u32 v8, s34, v2
	v_cmp_gt_i32_e64 s[2:3], s34, v5
	s_cmp_lg_u32 s14, 0
	s_cselect_b64 s[16:17], -1, 0
	s_and_b64 s[2:3], vcc, s[2:3]
	v_add_u32_e32 v7, s36, v6
	s_mul_i32 s37, s35, s34
	s_mul_i32 s38, s34, s34
	s_lshl_b32 s39, s34, 6
	v_mov_b32_e32 v9, 0
	s_branch .LBB14_3
.LBB14_2:                               ;   in Loop: Header=BB14_3 Depth=1
                                        ; implicit-def: $vgpr8
	s_and_b64 vcc, exec, s[26:27]
	s_cbranch_vccnz .LBB14_18
.LBB14_3:                               ; =>This Loop Header: Depth=1
                                        ;     Child Loop BB14_6 Depth 2
                                        ;     Child Loop BB14_10 Depth 2
                                        ;       Child Loop BB14_12 Depth 3
	s_ashr_i32 s5, s4, 31
	s_lshl_b64 s[26:27], s[4:5], 2
	s_add_u32 s26, s18, s26
	s_addc_u32 s27, s19, s27
	global_load_dword v2, v9, s[26:27]
	s_mov_b64 s[26:27], -1
	s_waitcnt vmcnt(0)
	v_readfirstlane_b32 s5, v2
	s_sub_i32 s5, s5, s12
	s_cmp_le_i32 s5, s6
	s_cbranch_scc1 .LBB14_2
; %bb.4:                                ;   in Loop: Header=BB14_3 Depth=1
	s_and_saveexec_b64 s[26:27], s[0:1]
	s_cbranch_execz .LBB14_7
; %bb.5:                                ;   in Loop: Header=BB14_3 Depth=1
	s_add_i32 s28, s5, s33
	s_ashr_i32 s29, s28, 31
	s_lshl_b64 s[28:29], s[28:29], 2
	s_add_u32 s28, s8, s28
	s_addc_u32 s29, s9, s29
	global_load_dword v2, v9, s[28:29] glc
	s_waitcnt vmcnt(0)
	v_cmp_ne_u32_e32 vcc, 0, v2
	s_cbranch_vccnz .LBB14_7
.LBB14_6:                               ;   Parent Loop BB14_3 Depth=1
                                        ; =>  This Inner Loop Header: Depth=2
	global_load_dword v2, v9, s[28:29] glc
	s_waitcnt vmcnt(0)
	v_cmp_eq_u32_e32 vcc, 0, v2
	s_cbranch_vccnz .LBB14_6
.LBB14_7:                               ;   in Loop: Header=BB14_3 Depth=1
	s_or_b64 exec, exec, s[26:27]
	buffer_wbinvl1_vol
	s_barrier
	s_and_saveexec_b64 s[26:27], s[2:3]
	s_cbranch_execz .LBB14_16
; %bb.8:                                ;   in Loop: Header=BB14_3 Depth=1
	s_mul_i32 s28, s37, s5
	s_mul_i32 s40, s4, s34
	v_add_u32_e32 v10, s28, v7
	s_mov_b64 s[28:29], 0
	v_mov_b32_e32 v11, v8
	v_mov_b32_e32 v12, v5
	s_branch .LBB14_10
.LBB14_9:                               ;   in Loop: Header=BB14_10 Depth=2
	v_add_u32_e32 v2, s7, v12
	v_mad_u64_u32 v[2:3], s[30:31], v2, s35, v[1:2]
	v_mov_b32_e32 v4, s23
	v_add_u32_e32 v12, 64, v12
	v_ashrrev_i32_e32 v3, 31, v2
	v_lshlrev_b64 v[2:3], 2, v[2:3]
	v_add_u32_e32 v11, s39, v11
	v_add_co_u32_e32 v2, vcc, s22, v2
	v_addc_co_u32_e32 v3, vcc, v4, v3, vcc
	global_load_dword v4, v[2:3], off
	v_cmp_le_i32_e32 vcc, s34, v12
	s_or_b64 s[28:29], vcc, s[28:29]
	s_waitcnt vmcnt(0)
	v_sub_f32_e32 v4, v4, v13
	global_store_dword v[2:3], v4, off
	s_andn2_b64 exec, exec, s[28:29]
	s_cbranch_execz .LBB14_16
.LBB14_10:                              ;   Parent Loop BB14_3 Depth=1
                                        ; =>  This Loop Header: Depth=2
                                        ;       Child Loop BB14_12 Depth 3
	v_mov_b32_e32 v13, 0
	s_mov_b32 s41, 0
	v_mov_b32_e32 v2, v10
	s_branch .LBB14_12
.LBB14_11:                              ;   in Loop: Header=BB14_12 Depth=3
	v_ashrrev_i32_e32 v4, 31, v3
	v_lshlrev_b64 v[3:4], 2, v[3:4]
	v_mov_b32_e32 v14, s11
	v_add_co_u32_e32 v3, vcc, s10, v3
	v_addc_co_u32_e32 v4, vcc, v14, v4, vcc
	global_load_dword v14, v[3:4], off
	v_ashrrev_i32_e32 v3, 31, v2
	v_lshlrev_b64 v[3:4], 2, v[2:3]
	v_mov_b32_e32 v15, s23
	v_add_co_u32_e32 v3, vcc, s22, v3
	v_addc_co_u32_e32 v4, vcc, v15, v4, vcc
	global_load_dword v3, v[3:4], off
	s_add_i32 s41, s41, 1
	s_cmp_eq_u32 s34, s41
	v_add_u32_e32 v2, s35, v2
	s_waitcnt vmcnt(0)
	v_fmac_f32_e32 v13, v14, v3
	s_cbranch_scc1 .LBB14_9
.LBB14_12:                              ;   Parent Loop BB14_3 Depth=1
                                        ;     Parent Loop BB14_10 Depth=2
                                        ; =>    This Inner Loop Header: Depth=3
	s_and_b64 vcc, exec, s[16:17]
	s_cbranch_vccz .LBB14_14
; %bb.13:                               ;   in Loop: Header=BB14_12 Depth=3
	s_add_i32 s30, s41, s40
	s_mul_i32 s30, s30, s34
	v_add_u32_e32 v3, s30, v12
	s_cbranch_execnz .LBB14_11
	s_branch .LBB14_15
.LBB14_14:                              ;   in Loop: Header=BB14_12 Depth=3
                                        ; implicit-def: $vgpr3
.LBB14_15:                              ;   in Loop: Header=BB14_12 Depth=3
	v_add_u32_e32 v3, s41, v11
	s_branch .LBB14_11
.LBB14_16:                              ;   in Loop: Header=BB14_3 Depth=1
	s_or_b64 exec, exec, s[26:27]
	s_add_i32 s28, s4, -1
	s_cmp_le_i32 s4, s15
	v_subrev_u32_e32 v8, s38, v8
	s_cselect_b64 s[26:27], -1, 0
	s_mov_b32 s4, s28
	s_and_b64 vcc, exec, s[26:27]
	s_cbranch_vccz .LBB14_3
	s_branch .LBB14_18
.LBB14_17:
	s_mov_b32 s5, s24
.LBB14_18:
	s_cmp_lt_i32 s6, s24
	s_cselect_b64 s[2:3], -1, 0
	s_cmp_eq_u32 s6, s5
	s_cselect_b64 s[0:1], -1, 0
	s_and_b64 s[0:1], s[2:3], s[0:1]
	v_cmp_gt_i32_e32 vcc, s25, v1
	s_and_b64 s[0:1], s[0:1], vcc
	s_cmp_gt_i32 s34, 0
	s_cselect_b64 s[16:17], -1, 0
	s_and_b64 s[18:19], s[0:1], s[16:17]
	s_mov_b64 s[0:1], 0
	s_and_saveexec_b64 s[16:17], s[18:19]
	s_cbranch_execz .LBB14_34
; %bb.19:
	v_add_u32_e32 v2, s7, v5
	s_cmp_eq_u32 s13, 0
	v_mul_lo_u32 v2, s35, v2
	s_cselect_b64 s[0:1], -1, 0
	s_cmp_lg_u32 s14, 0
	s_cselect_b64 s[14:15], -1, 0
	s_mul_i32 s13, s4, s34
	s_add_i32 s4, s4, 1
	s_mul_i32 s4, s34, s4
	v_add3_u32 v6, v6, v2, s36
	s_add_i32 s4, s4, -1
	v_cndmask_b32_e64 v2, 0, 1, s[0:1]
	s_lshl_b32 s28, s35, 6
	s_mul_i32 s29, s34, s4
	s_mov_b64 s[4:5], 0
	v_cmp_ne_u32_e64 s[0:1], 1, v2
	v_mov_b32_e32 v7, 0
	v_mov_b32_e32 v8, s23
	s_mov_b32 s23, s34
	s_add_i32 s30, s23, -1
	s_and_b64 vcc, exec, s[0:1]
	v_mov_b32_e32 v4, 1.0
	s_cbranch_vccnz .LBB14_21
.LBB14_20:
	s_add_i32 s18, s30, s13
	s_mul_i32 s18, s18, s34
	s_add_i32 s18, s18, s30
	s_ashr_i32 s19, s18, 31
	s_lshl_b64 s[18:19], s[18:19], 2
	s_add_u32 s18, s10, s18
	s_addc_u32 s19, s11, s19
	global_load_dword v4, v7, s[18:19]
.LBB14_21:                              ; =>This Loop Header: Depth=1
                                        ;     Child Loop BB14_26 Depth 2
	s_add_i32 s18, s30, s7
	s_mul_i32 s18, s18, s35
	v_add_u32_e32 v2, s18, v1
	v_ashrrev_i32_e32 v3, 31, v2
	v_lshlrev_b64 v[2:3], 2, v[2:3]
	v_add_co_u32_e32 v2, vcc, s22, v2
	v_addc_co_u32_e32 v3, vcc, v8, v3, vcc
	global_load_dword v9, v[2:3], off
	s_waitcnt vmcnt(1)
	v_cmp_eq_f32_e32 vcc, 0, v4
	s_cbranch_vccnz .LBB14_23
; %bb.22:                               ;   in Loop: Header=BB14_21 Depth=1
	s_waitcnt vmcnt(0)
	v_div_scale_f32 v10, s[18:19], v4, v4, v9
	v_div_scale_f32 v11, vcc, v9, v4, v9
	v_rcp_f32_e32 v12, v10
	v_fma_f32 v13, -v10, v12, 1.0
	v_fmac_f32_e32 v12, v13, v12
	v_mul_f32_e32 v13, v11, v12
	v_fma_f32 v14, -v10, v13, v11
	v_fmac_f32_e32 v13, v14, v12
	v_fma_f32 v10, -v10, v13, v11
	v_div_fmas_f32 v10, v10, v12, v13
	v_div_fixup_f32 v9, v10, v4, v9
	global_store_dword v[2:3], v9, off
	v_cmp_gt_i32_e32 vcc, s30, v5
	s_and_saveexec_b64 s[18:19], vcc
	s_cbranch_execnz .LBB14_24
	s_branch .LBB14_30
.LBB14_23:                              ;   in Loop: Header=BB14_21 Depth=1
	s_mov_b64 s[4:5], -1
	v_cmp_gt_i32_e32 vcc, s30, v5
	s_and_saveexec_b64 s[18:19], vcc
	s_cbranch_execz .LBB14_30
.LBB14_24:                              ;   in Loop: Header=BB14_21 Depth=1
	s_mov_b64 s[24:25], 0
	v_mov_b32_e32 v2, v6
	v_mov_b32_e32 v10, v5
	s_branch .LBB14_26
.LBB14_25:                              ;   in Loop: Header=BB14_26 Depth=2
	v_ashrrev_i32_e32 v4, 31, v3
	v_lshlrev_b64 v[3:4], 2, v[3:4]
	v_mov_b32_e32 v11, s11
	v_add_co_u32_e32 v3, vcc, s10, v3
	v_addc_co_u32_e32 v4, vcc, v11, v4, vcc
	global_load_dword v11, v[3:4], off
	v_ashrrev_i32_e32 v3, 31, v2
	v_lshlrev_b64 v[3:4], 2, v[2:3]
	v_add_u32_e32 v10, 64, v10
	v_add_co_u32_e32 v3, vcc, s22, v3
	v_addc_co_u32_e32 v4, vcc, v8, v4, vcc
	global_load_dword v12, v[3:4], off
	v_cmp_le_i32_e32 vcc, s30, v10
	s_or_b64 s[24:25], vcc, s[24:25]
	v_add_u32_e32 v2, s28, v2
	s_waitcnt vmcnt(0)
	v_fma_f32 v11, -v9, v11, v12
	global_store_dword v[3:4], v11, off
	s_andn2_b64 exec, exec, s[24:25]
	s_cbranch_execz .LBB14_30
.LBB14_26:                              ;   Parent Loop BB14_21 Depth=1
                                        ; =>  This Inner Loop Header: Depth=2
	s_and_b64 vcc, exec, s[14:15]
	s_cbranch_vccz .LBB14_28
; %bb.27:                               ;   in Loop: Header=BB14_26 Depth=2
	v_add_u32_e32 v3, s29, v10
	s_cbranch_execnz .LBB14_25
	s_branch .LBB14_29
.LBB14_28:                              ;   in Loop: Header=BB14_26 Depth=2
                                        ; implicit-def: $vgpr3
.LBB14_29:                              ;   in Loop: Header=BB14_26 Depth=2
	v_add_u32_e32 v3, s13, v10
	v_mul_lo_u32 v3, v3, s34
	v_add_u32_e32 v3, s30, v3
	s_branch .LBB14_25
.LBB14_30:                              ;   in Loop: Header=BB14_21 Depth=1
	s_or_b64 exec, exec, s[18:19]
; %bb.31:                               ;   in Loop: Header=BB14_21 Depth=1
	s_sub_i32 s29, s29, s34
	s_cmp_lt_i32 s23, 2
	s_cbranch_scc1 .LBB14_33
; %bb.32:                               ;   in Loop: Header=BB14_21 Depth=1
	s_mov_b32 s23, s30
	s_add_i32 s30, s23, -1
	s_and_b64 vcc, exec, s[0:1]
	v_mov_b32_e32 v4, 1.0
	s_cbranch_vccnz .LBB14_21
	s_branch .LBB14_20
.LBB14_33:
	s_and_b64 s[0:1], s[4:5], exec
.LBB14_34:
	s_or_b64 exec, exec, s[16:17]
	v_cmp_eq_u32_e32 vcc, 0, v0
	s_and_b64 s[2:3], vcc, s[2:3]
	s_waitcnt vmcnt(0)
	buffer_wbinvl1_vol
	s_barrier
	s_and_saveexec_b64 s[4:5], s[2:3]
	s_cbranch_execz .LBB14_38
; %bb.35:
	s_add_i32 s2, s6, s33
	s_ashr_i32 s3, s2, 31
	s_lshl_b64 s[2:3], s[2:3], 2
	s_add_u32 s2, s8, s2
	s_addc_u32 s3, s9, s3
	v_mov_b32_e32 v0, 0
	v_mov_b32_e32 v1, 1
	global_store_dword v0, v1, s[2:3]
	s_and_b64 exec, exec, s[0:1]
	s_cbranch_execz .LBB14_38
; %bb.36:
	v_mbcnt_lo_u32_b32 v0, exec_lo, 0
	v_mbcnt_hi_u32_b32 v0, exec_hi, v0
	v_cmp_eq_u32_e32 vcc, 0, v0
	s_and_b64 exec, exec, vcc
	s_cbranch_execz .LBB14_38
; %bb.37:
	s_add_i32 s0, s6, s12
	v_mov_b32_e32 v0, 0
	v_mov_b32_e32 v1, s0
	global_atomic_smin v0, v1, s[20:21]
.LBB14_38:
	s_endpgm
	.section	.rodata,"a",@progbits
	.p2align	6, 0x0
	.amdhsa_kernel _ZN9rocsparseL24bsrsm_upper_large_kernelILj1024ELj16ELb0EfEEviiPKiS2_PKT2_iPS3_iPiS2_S7_21rocsparse_index_base_20rocsparse_diag_type_20rocsparse_direction_
		.amdhsa_group_segment_fixed_size 0
		.amdhsa_private_segment_fixed_size 0
		.amdhsa_kernarg_size 92
		.amdhsa_user_sgpr_count 6
		.amdhsa_user_sgpr_private_segment_buffer 1
		.amdhsa_user_sgpr_dispatch_ptr 0
		.amdhsa_user_sgpr_queue_ptr 0
		.amdhsa_user_sgpr_kernarg_segment_ptr 1
		.amdhsa_user_sgpr_dispatch_id 0
		.amdhsa_user_sgpr_flat_scratch_init 0
		.amdhsa_user_sgpr_private_segment_size 0
		.amdhsa_uses_dynamic_stack 0
		.amdhsa_system_sgpr_private_segment_wavefront_offset 0
		.amdhsa_system_sgpr_workgroup_id_x 1
		.amdhsa_system_sgpr_workgroup_id_y 0
		.amdhsa_system_sgpr_workgroup_id_z 0
		.amdhsa_system_sgpr_workgroup_info 0
		.amdhsa_system_vgpr_workitem_id 0
		.amdhsa_next_free_vgpr 16
		.amdhsa_next_free_sgpr 42
		.amdhsa_reserve_vcc 1
		.amdhsa_reserve_flat_scratch 0
		.amdhsa_float_round_mode_32 0
		.amdhsa_float_round_mode_16_64 0
		.amdhsa_float_denorm_mode_32 3
		.amdhsa_float_denorm_mode_16_64 3
		.amdhsa_dx10_clamp 1
		.amdhsa_ieee_mode 1
		.amdhsa_fp16_overflow 0
		.amdhsa_exception_fp_ieee_invalid_op 0
		.amdhsa_exception_fp_denorm_src 0
		.amdhsa_exception_fp_ieee_div_zero 0
		.amdhsa_exception_fp_ieee_overflow 0
		.amdhsa_exception_fp_ieee_underflow 0
		.amdhsa_exception_fp_ieee_inexact 0
		.amdhsa_exception_int_div_zero 0
	.end_amdhsa_kernel
	.section	.text._ZN9rocsparseL24bsrsm_upper_large_kernelILj1024ELj16ELb0EfEEviiPKiS2_PKT2_iPS3_iPiS2_S7_21rocsparse_index_base_20rocsparse_diag_type_20rocsparse_direction_,"axG",@progbits,_ZN9rocsparseL24bsrsm_upper_large_kernelILj1024ELj16ELb0EfEEviiPKiS2_PKT2_iPS3_iPiS2_S7_21rocsparse_index_base_20rocsparse_diag_type_20rocsparse_direction_,comdat
.Lfunc_end14:
	.size	_ZN9rocsparseL24bsrsm_upper_large_kernelILj1024ELj16ELb0EfEEviiPKiS2_PKT2_iPS3_iPiS2_S7_21rocsparse_index_base_20rocsparse_diag_type_20rocsparse_direction_, .Lfunc_end14-_ZN9rocsparseL24bsrsm_upper_large_kernelILj1024ELj16ELb0EfEEviiPKiS2_PKT2_iPS3_iPiS2_S7_21rocsparse_index_base_20rocsparse_diag_type_20rocsparse_direction_
                                        ; -- End function
	.set _ZN9rocsparseL24bsrsm_upper_large_kernelILj1024ELj16ELb0EfEEviiPKiS2_PKT2_iPS3_iPiS2_S7_21rocsparse_index_base_20rocsparse_diag_type_20rocsparse_direction_.num_vgpr, 16
	.set _ZN9rocsparseL24bsrsm_upper_large_kernelILj1024ELj16ELb0EfEEviiPKiS2_PKT2_iPS3_iPiS2_S7_21rocsparse_index_base_20rocsparse_diag_type_20rocsparse_direction_.num_agpr, 0
	.set _ZN9rocsparseL24bsrsm_upper_large_kernelILj1024ELj16ELb0EfEEviiPKiS2_PKT2_iPS3_iPiS2_S7_21rocsparse_index_base_20rocsparse_diag_type_20rocsparse_direction_.numbered_sgpr, 42
	.set _ZN9rocsparseL24bsrsm_upper_large_kernelILj1024ELj16ELb0EfEEviiPKiS2_PKT2_iPS3_iPiS2_S7_21rocsparse_index_base_20rocsparse_diag_type_20rocsparse_direction_.num_named_barrier, 0
	.set _ZN9rocsparseL24bsrsm_upper_large_kernelILj1024ELj16ELb0EfEEviiPKiS2_PKT2_iPS3_iPiS2_S7_21rocsparse_index_base_20rocsparse_diag_type_20rocsparse_direction_.private_seg_size, 0
	.set _ZN9rocsparseL24bsrsm_upper_large_kernelILj1024ELj16ELb0EfEEviiPKiS2_PKT2_iPS3_iPiS2_S7_21rocsparse_index_base_20rocsparse_diag_type_20rocsparse_direction_.uses_vcc, 1
	.set _ZN9rocsparseL24bsrsm_upper_large_kernelILj1024ELj16ELb0EfEEviiPKiS2_PKT2_iPS3_iPiS2_S7_21rocsparse_index_base_20rocsparse_diag_type_20rocsparse_direction_.uses_flat_scratch, 0
	.set _ZN9rocsparseL24bsrsm_upper_large_kernelILj1024ELj16ELb0EfEEviiPKiS2_PKT2_iPS3_iPiS2_S7_21rocsparse_index_base_20rocsparse_diag_type_20rocsparse_direction_.has_dyn_sized_stack, 0
	.set _ZN9rocsparseL24bsrsm_upper_large_kernelILj1024ELj16ELb0EfEEviiPKiS2_PKT2_iPS3_iPiS2_S7_21rocsparse_index_base_20rocsparse_diag_type_20rocsparse_direction_.has_recursion, 0
	.set _ZN9rocsparseL24bsrsm_upper_large_kernelILj1024ELj16ELb0EfEEviiPKiS2_PKT2_iPS3_iPiS2_S7_21rocsparse_index_base_20rocsparse_diag_type_20rocsparse_direction_.has_indirect_call, 0
	.section	.AMDGPU.csdata,"",@progbits
; Kernel info:
; codeLenInByte = 1476
; TotalNumSgprs: 46
; NumVgprs: 16
; ScratchSize: 0
; MemoryBound: 0
; FloatMode: 240
; IeeeMode: 1
; LDSByteSize: 0 bytes/workgroup (compile time only)
; SGPRBlocks: 5
; VGPRBlocks: 3
; NumSGPRsForWavesPerEU: 46
; NumVGPRsForWavesPerEU: 16
; Occupancy: 10
; WaveLimiterHint : 1
; COMPUTE_PGM_RSRC2:SCRATCH_EN: 0
; COMPUTE_PGM_RSRC2:USER_SGPR: 6
; COMPUTE_PGM_RSRC2:TRAP_HANDLER: 0
; COMPUTE_PGM_RSRC2:TGID_X_EN: 1
; COMPUTE_PGM_RSRC2:TGID_Y_EN: 0
; COMPUTE_PGM_RSRC2:TGID_Z_EN: 0
; COMPUTE_PGM_RSRC2:TIDIG_COMP_CNT: 0
	.section	.text._ZN9rocsparseL24bsrsm_lower_large_kernelILj1024ELj16ELb0EfEEviiPKiS2_PKT2_iPS3_iPiS2_S7_21rocsparse_index_base_20rocsparse_diag_type_20rocsparse_direction_,"axG",@progbits,_ZN9rocsparseL24bsrsm_lower_large_kernelILj1024ELj16ELb0EfEEviiPKiS2_PKT2_iPS3_iPiS2_S7_21rocsparse_index_base_20rocsparse_diag_type_20rocsparse_direction_,comdat
	.globl	_ZN9rocsparseL24bsrsm_lower_large_kernelILj1024ELj16ELb0EfEEviiPKiS2_PKT2_iPS3_iPiS2_S7_21rocsparse_index_base_20rocsparse_diag_type_20rocsparse_direction_ ; -- Begin function _ZN9rocsparseL24bsrsm_lower_large_kernelILj1024ELj16ELb0EfEEviiPKiS2_PKT2_iPS3_iPiS2_S7_21rocsparse_index_base_20rocsparse_diag_type_20rocsparse_direction_
	.p2align	8
	.type	_ZN9rocsparseL24bsrsm_lower_large_kernelILj1024ELj16ELb0EfEEviiPKiS2_PKT2_iPS3_iPiS2_S7_21rocsparse_index_base_20rocsparse_diag_type_20rocsparse_direction_,@function
_ZN9rocsparseL24bsrsm_lower_large_kernelILj1024ELj16ELb0EfEEviiPKiS2_PKT2_iPS3_iPiS2_S7_21rocsparse_index_base_20rocsparse_diag_type_20rocsparse_direction_: ; @_ZN9rocsparseL24bsrsm_lower_large_kernelILj1024ELj16ELb0EfEEviiPKiS2_PKT2_iPS3_iPiS2_S7_21rocsparse_index_base_20rocsparse_diag_type_20rocsparse_direction_
; %bb.0:
	s_load_dwordx2 s[24:25], s[4:5], 0x0
	s_load_dwordx4 s[16:19], s[4:5], 0x8
	s_load_dwordx4 s[8:11], s[4:5], 0x38
	s_load_dwordx2 s[20:21], s[4:5], 0x48
	v_lshrrev_b32_e32 v6, 6, v0
	v_and_b32_e32 v5, 63, v0
	s_waitcnt lgkmcnt(0)
	v_cvt_f32_u32_e32 v1, s24
	s_sub_i32 s0, 0, s24
	v_rcp_iflag_f32_e32 v1, v1
	v_mul_f32_e32 v1, 0x4f7ffffe, v1
	v_cvt_u32_f32_e32 v1, v1
	v_readfirstlane_b32 s1, v1
	s_mul_i32 s0, s0, s1
	s_mul_hi_u32 s0, s1, s0
	s_add_i32 s1, s1, s0
	s_mul_hi_u32 s0, s6, s1
	s_mul_i32 s1, s0, s24
	s_sub_i32 s1, s6, s1
	s_add_i32 s2, s0, 1
	s_sub_i32 s3, s1, s24
	s_cmp_ge_u32 s1, s24
	s_cselect_b32 s0, s2, s0
	s_cselect_b32 s1, s3, s1
	s_add_i32 s2, s0, 1
	s_cmp_ge_u32 s1, s24
	s_cselect_b32 s26, s2, s0
	s_mul_i32 s33, s26, s24
	s_sub_i32 s0, s6, s33
	s_ashr_i32 s1, s0, 31
	s_lshl_b64 s[0:1], s[0:1], 2
	s_add_u32 s0, s10, s0
	s_addc_u32 s1, s11, s1
	s_load_dword s6, s[0:1], 0x0
	s_load_dwordx2 s[10:11], s[4:5], 0x18
	s_load_dword s34, s[4:5], 0x20
	s_load_dwordx2 s[22:23], s[4:5], 0x28
	s_load_dword s35, s[4:5], 0x30
	s_load_dwordx4 s[12:15], s[4:5], 0x50
	s_waitcnt lgkmcnt(0)
	s_ashr_i32 s7, s6, 31
	s_lshl_b64 s[0:1], s[6:7], 2
	s_add_u32 s0, s16, s0
	s_addc_u32 s1, s17, s1
	s_load_dwordx2 s[2:3], s[0:1], 0x0
	s_lshl_b32 s36, s26, 4
	v_or_b32_e32 v1, s36, v6
	s_mul_i32 s7, s6, s34
	v_cmp_gt_i32_e32 vcc, s25, v1
	s_waitcnt lgkmcnt(0)
	s_sub_i32 s4, s2, s12
	s_cmp_ge_i32 s2, s3
	s_mul_i32 s37, s34, s34
	v_cmp_eq_u32_e64 s[0:1], 0, v0
	s_cbranch_scc1 .LBB15_17
; %bb.1:
	s_mul_i32 s5, s34, s4
	v_add_u32_e32 v2, s5, v5
	v_mul_lo_u32 v8, s34, v2
	s_sub_i32 s15, s3, s12
	v_cmp_gt_i32_e64 s[2:3], s34, v5
	s_cmp_lg_u32 s14, 0
	s_cselect_b64 s[16:17], -1, 0
	s_and_b64 s[2:3], vcc, s[2:3]
	v_add_u32_e32 v7, s36, v6
	s_mul_i32 s38, s35, s34
	s_lshl_b32 s39, s34, 6
	v_mov_b32_e32 v9, 0
	s_branch .LBB15_3
.LBB15_2:                               ;   in Loop: Header=BB15_3 Depth=1
                                        ; implicit-def: $vgpr8
	s_and_b64 vcc, exec, s[26:27]
	s_cbranch_vccnz .LBB15_18
.LBB15_3:                               ; =>This Loop Header: Depth=1
                                        ;     Child Loop BB15_6 Depth 2
                                        ;     Child Loop BB15_10 Depth 2
                                        ;       Child Loop BB15_12 Depth 3
	s_ashr_i32 s5, s4, 31
	s_lshl_b64 s[26:27], s[4:5], 2
	s_add_u32 s26, s18, s26
	s_addc_u32 s27, s19, s27
	global_load_dword v2, v9, s[26:27]
	s_mov_b64 s[26:27], -1
	s_waitcnt vmcnt(0)
	v_readfirstlane_b32 s5, v2
	s_sub_i32 s5, s5, s12
	s_cmp_ge_i32 s5, s6
	s_cbranch_scc1 .LBB15_2
; %bb.4:                                ;   in Loop: Header=BB15_3 Depth=1
	s_and_saveexec_b64 s[26:27], s[0:1]
	s_cbranch_execz .LBB15_7
; %bb.5:                                ;   in Loop: Header=BB15_3 Depth=1
	s_add_i32 s28, s5, s33
	s_ashr_i32 s29, s28, 31
	s_lshl_b64 s[28:29], s[28:29], 2
	s_add_u32 s28, s8, s28
	s_addc_u32 s29, s9, s29
	global_load_dword v2, v9, s[28:29] glc
	s_waitcnt vmcnt(0)
	v_cmp_ne_u32_e32 vcc, 0, v2
	s_cbranch_vccnz .LBB15_7
.LBB15_6:                               ;   Parent Loop BB15_3 Depth=1
                                        ; =>  This Inner Loop Header: Depth=2
	global_load_dword v2, v9, s[28:29] glc
	s_waitcnt vmcnt(0)
	v_cmp_eq_u32_e32 vcc, 0, v2
	s_cbranch_vccnz .LBB15_6
.LBB15_7:                               ;   in Loop: Header=BB15_3 Depth=1
	s_or_b64 exec, exec, s[26:27]
	buffer_wbinvl1_vol
	s_barrier
	s_and_saveexec_b64 s[26:27], s[2:3]
	s_cbranch_execz .LBB15_16
; %bb.8:                                ;   in Loop: Header=BB15_3 Depth=1
	s_mul_i32 s28, s38, s5
	s_mul_i32 s40, s4, s34
	v_add_u32_e32 v10, s28, v7
	s_mov_b64 s[28:29], 0
	v_mov_b32_e32 v11, v8
	v_mov_b32_e32 v12, v5
	s_branch .LBB15_10
.LBB15_9:                               ;   in Loop: Header=BB15_10 Depth=2
	v_add_u32_e32 v2, s7, v12
	v_mad_u64_u32 v[2:3], s[30:31], v2, s35, v[1:2]
	v_mov_b32_e32 v4, s23
	v_add_u32_e32 v12, 64, v12
	v_ashrrev_i32_e32 v3, 31, v2
	v_lshlrev_b64 v[2:3], 2, v[2:3]
	v_add_u32_e32 v11, s39, v11
	v_add_co_u32_e32 v2, vcc, s22, v2
	v_addc_co_u32_e32 v3, vcc, v4, v3, vcc
	global_load_dword v4, v[2:3], off
	v_cmp_le_i32_e32 vcc, s34, v12
	s_or_b64 s[28:29], vcc, s[28:29]
	s_waitcnt vmcnt(0)
	v_sub_f32_e32 v4, v4, v13
	global_store_dword v[2:3], v4, off
	s_andn2_b64 exec, exec, s[28:29]
	s_cbranch_execz .LBB15_16
.LBB15_10:                              ;   Parent Loop BB15_3 Depth=1
                                        ; =>  This Loop Header: Depth=2
                                        ;       Child Loop BB15_12 Depth 3
	v_mov_b32_e32 v13, 0
	s_mov_b32 s41, 0
	v_mov_b32_e32 v2, v10
	s_branch .LBB15_12
.LBB15_11:                              ;   in Loop: Header=BB15_12 Depth=3
	v_ashrrev_i32_e32 v4, 31, v3
	v_lshlrev_b64 v[3:4], 2, v[3:4]
	v_mov_b32_e32 v14, s11
	v_add_co_u32_e32 v3, vcc, s10, v3
	v_addc_co_u32_e32 v4, vcc, v14, v4, vcc
	global_load_dword v14, v[3:4], off
	v_ashrrev_i32_e32 v3, 31, v2
	v_lshlrev_b64 v[3:4], 2, v[2:3]
	v_mov_b32_e32 v15, s23
	v_add_co_u32_e32 v3, vcc, s22, v3
	v_addc_co_u32_e32 v4, vcc, v15, v4, vcc
	global_load_dword v3, v[3:4], off
	s_add_i32 s41, s41, 1
	s_cmp_eq_u32 s34, s41
	v_add_u32_e32 v2, s35, v2
	s_waitcnt vmcnt(0)
	v_fmac_f32_e32 v13, v14, v3
	s_cbranch_scc1 .LBB15_9
.LBB15_12:                              ;   Parent Loop BB15_3 Depth=1
                                        ;     Parent Loop BB15_10 Depth=2
                                        ; =>    This Inner Loop Header: Depth=3
	s_and_b64 vcc, exec, s[16:17]
	s_cbranch_vccz .LBB15_14
; %bb.13:                               ;   in Loop: Header=BB15_12 Depth=3
	s_add_i32 s30, s41, s40
	s_mul_i32 s30, s30, s34
	v_add_u32_e32 v3, s30, v12
	s_cbranch_execnz .LBB15_11
	s_branch .LBB15_15
.LBB15_14:                              ;   in Loop: Header=BB15_12 Depth=3
                                        ; implicit-def: $vgpr3
.LBB15_15:                              ;   in Loop: Header=BB15_12 Depth=3
	v_add_u32_e32 v3, s41, v11
	s_branch .LBB15_11
.LBB15_16:                              ;   in Loop: Header=BB15_3 Depth=1
	s_or_b64 exec, exec, s[26:27]
	s_add_i32 s4, s4, 1
	s_cmp_ge_i32 s4, s15
	v_add_u32_e32 v8, s37, v8
	s_cselect_b64 s[26:27], -1, 0
	s_and_b64 vcc, exec, s[26:27]
	s_cbranch_vccz .LBB15_3
	s_branch .LBB15_18
.LBB15_17:
	s_mov_b32 s5, s24
.LBB15_18:
	s_cmp_lt_i32 s6, s24
	s_cselect_b64 s[2:3], -1, 0
	s_cmp_eq_u32 s6, s5
	s_cselect_b64 s[0:1], -1, 0
	s_and_b64 s[0:1], s[2:3], s[0:1]
	v_cmp_gt_i32_e32 vcc, s25, v1
	s_and_b64 s[0:1], s[0:1], vcc
	s_cmp_gt_i32 s34, 0
	s_cselect_b64 s[16:17], -1, 0
	s_mov_b32 s28, 0
	s_and_b64 s[18:19], s[0:1], s[16:17]
	s_mov_b64 s[0:1], 0
	s_and_saveexec_b64 s[16:17], s[18:19]
	s_cbranch_execz .LBB15_33
; %bb.19:
	v_add_u32_e32 v2, s7, v5
	v_mul_lo_u32 v2, s35, v2
	s_cmp_eq_u32 s13, 0
	s_cselect_b64 s[0:1], -1, 0
	s_cmp_lg_u32 s14, 0
	v_add_u32_e32 v2, s35, v2
	v_add3_u32 v6, v6, v2, s36
	v_cndmask_b32_e64 v2, 0, 1, s[0:1]
	s_cselect_b64 s[14:15], -1, 0
	v_add_u32_e32 v5, 1, v5
	s_mul_i32 s13, s4, s34
	s_lshl_b32 s29, s35, 6
	s_mul_i32 s30, s4, s37
	s_add_i32 s31, s34, 1
	s_mov_b64 s[4:5], 0
	v_cmp_ne_u32_e64 s[0:1], 1, v2
	v_mov_b32_e32 v7, 0
	v_mov_b32_e32 v8, s23
	s_branch .LBB15_21
.LBB15_20:                              ;   in Loop: Header=BB15_21 Depth=1
	s_or_b64 exec, exec, s[18:19]
	s_add_i32 s28, s28, 1
	s_add_i32 s30, s30, s31
	s_cmp_eq_u32 s28, s34
	v_add_u32_e32 v6, s35, v6
	s_cbranch_scc1 .LBB15_32
.LBB15_21:                              ; =>This Loop Header: Depth=1
                                        ;     Child Loop BB15_28 Depth 2
	s_and_b64 vcc, exec, s[0:1]
	v_mov_b32_e32 v4, 1.0
	s_cbranch_vccnz .LBB15_23
; %bb.22:                               ;   in Loop: Header=BB15_21 Depth=1
	s_add_i32 s18, s28, s13
	s_mul_i32 s18, s18, s34
	s_add_i32 s18, s18, s28
	s_ashr_i32 s19, s18, 31
	s_lshl_b64 s[18:19], s[18:19], 2
	s_add_u32 s18, s10, s18
	s_addc_u32 s19, s11, s19
	global_load_dword v4, v7, s[18:19]
.LBB15_23:                              ;   in Loop: Header=BB15_21 Depth=1
	s_add_i32 s18, s28, s7
	s_mul_i32 s18, s18, s35
	v_add_u32_e32 v2, s18, v1
	v_ashrrev_i32_e32 v3, 31, v2
	v_lshlrev_b64 v[2:3], 2, v[2:3]
	v_add_co_u32_e32 v2, vcc, s22, v2
	v_addc_co_u32_e32 v3, vcc, v8, v3, vcc
	global_load_dword v9, v[2:3], off
	s_waitcnt vmcnt(1)
	v_cmp_eq_f32_e32 vcc, 0, v4
	s_cbranch_vccnz .LBB15_25
; %bb.24:                               ;   in Loop: Header=BB15_21 Depth=1
	s_waitcnt vmcnt(0)
	v_div_scale_f32 v10, s[18:19], v4, v4, v9
	v_div_scale_f32 v11, vcc, v9, v4, v9
	v_rcp_f32_e32 v12, v10
	v_fma_f32 v13, -v10, v12, 1.0
	v_fmac_f32_e32 v12, v13, v12
	v_mul_f32_e32 v13, v11, v12
	v_fma_f32 v14, -v10, v13, v11
	v_fmac_f32_e32 v13, v14, v12
	v_fma_f32 v10, -v10, v13, v11
	v_div_fmas_f32 v10, v10, v12, v13
	v_div_fixup_f32 v9, v10, v4, v9
	global_store_dword v[2:3], v9, off
	v_add_u32_e32 v10, s28, v5
	v_cmp_gt_i32_e32 vcc, s34, v10
	s_and_saveexec_b64 s[18:19], vcc
	s_cbranch_execz .LBB15_20
	s_branch .LBB15_26
.LBB15_25:                              ;   in Loop: Header=BB15_21 Depth=1
	s_mov_b64 s[4:5], -1
	v_add_u32_e32 v10, s28, v5
	v_cmp_gt_i32_e32 vcc, s34, v10
	s_and_saveexec_b64 s[18:19], vcc
	s_cbranch_execz .LBB15_20
.LBB15_26:                              ;   in Loop: Header=BB15_21 Depth=1
	s_mov_b64 s[24:25], 0
	v_mov_b32_e32 v2, v6
	v_mov_b32_e32 v11, v5
	s_branch .LBB15_28
.LBB15_27:                              ;   in Loop: Header=BB15_28 Depth=2
	v_ashrrev_i32_e32 v4, 31, v3
	v_lshlrev_b64 v[3:4], 2, v[3:4]
	v_mov_b32_e32 v12, s11
	v_add_co_u32_e32 v3, vcc, s10, v3
	v_addc_co_u32_e32 v4, vcc, v12, v4, vcc
	global_load_dword v12, v[3:4], off
	v_ashrrev_i32_e32 v3, 31, v2
	v_lshlrev_b64 v[3:4], 2, v[2:3]
	v_add_u32_e32 v11, 64, v11
	v_add_co_u32_e32 v3, vcc, s22, v3
	v_addc_co_u32_e32 v4, vcc, v8, v4, vcc
	global_load_dword v13, v[3:4], off
	v_add_u32_e32 v14, s28, v11
	v_cmp_le_i32_e32 vcc, s34, v14
	v_add_u32_e32 v10, 64, v10
	s_or_b64 s[24:25], vcc, s[24:25]
	v_add_u32_e32 v2, s29, v2
	s_waitcnt vmcnt(0)
	v_fma_f32 v12, -v9, v12, v13
	global_store_dword v[3:4], v12, off
	s_andn2_b64 exec, exec, s[24:25]
	s_cbranch_execz .LBB15_20
.LBB15_28:                              ;   Parent Loop BB15_21 Depth=1
                                        ; =>  This Inner Loop Header: Depth=2
	s_and_b64 vcc, exec, s[14:15]
	s_cbranch_vccz .LBB15_30
; %bb.29:                               ;   in Loop: Header=BB15_28 Depth=2
	v_add_u32_e32 v3, s30, v11
	s_cbranch_execnz .LBB15_27
	s_branch .LBB15_31
.LBB15_30:                              ;   in Loop: Header=BB15_28 Depth=2
                                        ; implicit-def: $vgpr3
.LBB15_31:                              ;   in Loop: Header=BB15_28 Depth=2
	v_add_u32_e32 v3, s13, v10
	v_mul_lo_u32 v3, v3, s34
	v_add_u32_e32 v3, s28, v3
	s_branch .LBB15_27
.LBB15_32:
	s_and_b64 s[0:1], s[4:5], exec
.LBB15_33:
	s_or_b64 exec, exec, s[16:17]
	v_cmp_eq_u32_e32 vcc, 0, v0
	s_and_b64 s[2:3], vcc, s[2:3]
	s_waitcnt vmcnt(0)
	buffer_wbinvl1_vol
	s_barrier
	s_and_saveexec_b64 s[4:5], s[2:3]
	s_cbranch_execz .LBB15_37
; %bb.34:
	s_add_i32 s2, s6, s33
	s_ashr_i32 s3, s2, 31
	s_lshl_b64 s[2:3], s[2:3], 2
	s_add_u32 s2, s8, s2
	s_addc_u32 s3, s9, s3
	v_mov_b32_e32 v0, 0
	v_mov_b32_e32 v1, 1
	global_store_dword v0, v1, s[2:3]
	s_and_b64 exec, exec, s[0:1]
	s_cbranch_execz .LBB15_37
; %bb.35:
	v_mbcnt_lo_u32_b32 v0, exec_lo, 0
	v_mbcnt_hi_u32_b32 v0, exec_hi, v0
	v_cmp_eq_u32_e32 vcc, 0, v0
	s_and_b64 exec, exec, vcc
	s_cbranch_execz .LBB15_37
; %bb.36:
	s_add_i32 s0, s6, s12
	v_mov_b32_e32 v0, 0
	v_mov_b32_e32 v1, s0
	global_atomic_smin v0, v1, s[20:21]
.LBB15_37:
	s_endpgm
	.section	.rodata,"a",@progbits
	.p2align	6, 0x0
	.amdhsa_kernel _ZN9rocsparseL24bsrsm_lower_large_kernelILj1024ELj16ELb0EfEEviiPKiS2_PKT2_iPS3_iPiS2_S7_21rocsparse_index_base_20rocsparse_diag_type_20rocsparse_direction_
		.amdhsa_group_segment_fixed_size 0
		.amdhsa_private_segment_fixed_size 0
		.amdhsa_kernarg_size 92
		.amdhsa_user_sgpr_count 6
		.amdhsa_user_sgpr_private_segment_buffer 1
		.amdhsa_user_sgpr_dispatch_ptr 0
		.amdhsa_user_sgpr_queue_ptr 0
		.amdhsa_user_sgpr_kernarg_segment_ptr 1
		.amdhsa_user_sgpr_dispatch_id 0
		.amdhsa_user_sgpr_flat_scratch_init 0
		.amdhsa_user_sgpr_private_segment_size 0
		.amdhsa_uses_dynamic_stack 0
		.amdhsa_system_sgpr_private_segment_wavefront_offset 0
		.amdhsa_system_sgpr_workgroup_id_x 1
		.amdhsa_system_sgpr_workgroup_id_y 0
		.amdhsa_system_sgpr_workgroup_id_z 0
		.amdhsa_system_sgpr_workgroup_info 0
		.amdhsa_system_vgpr_workitem_id 0
		.amdhsa_next_free_vgpr 16
		.amdhsa_next_free_sgpr 42
		.amdhsa_reserve_vcc 1
		.amdhsa_reserve_flat_scratch 0
		.amdhsa_float_round_mode_32 0
		.amdhsa_float_round_mode_16_64 0
		.amdhsa_float_denorm_mode_32 3
		.amdhsa_float_denorm_mode_16_64 3
		.amdhsa_dx10_clamp 1
		.amdhsa_ieee_mode 1
		.amdhsa_fp16_overflow 0
		.amdhsa_exception_fp_ieee_invalid_op 0
		.amdhsa_exception_fp_denorm_src 0
		.amdhsa_exception_fp_ieee_div_zero 0
		.amdhsa_exception_fp_ieee_overflow 0
		.amdhsa_exception_fp_ieee_underflow 0
		.amdhsa_exception_fp_ieee_inexact 0
		.amdhsa_exception_int_div_zero 0
	.end_amdhsa_kernel
	.section	.text._ZN9rocsparseL24bsrsm_lower_large_kernelILj1024ELj16ELb0EfEEviiPKiS2_PKT2_iPS3_iPiS2_S7_21rocsparse_index_base_20rocsparse_diag_type_20rocsparse_direction_,"axG",@progbits,_ZN9rocsparseL24bsrsm_lower_large_kernelILj1024ELj16ELb0EfEEviiPKiS2_PKT2_iPS3_iPiS2_S7_21rocsparse_index_base_20rocsparse_diag_type_20rocsparse_direction_,comdat
.Lfunc_end15:
	.size	_ZN9rocsparseL24bsrsm_lower_large_kernelILj1024ELj16ELb0EfEEviiPKiS2_PKT2_iPS3_iPiS2_S7_21rocsparse_index_base_20rocsparse_diag_type_20rocsparse_direction_, .Lfunc_end15-_ZN9rocsparseL24bsrsm_lower_large_kernelILj1024ELj16ELb0EfEEviiPKiS2_PKT2_iPS3_iPiS2_S7_21rocsparse_index_base_20rocsparse_diag_type_20rocsparse_direction_
                                        ; -- End function
	.set _ZN9rocsparseL24bsrsm_lower_large_kernelILj1024ELj16ELb0EfEEviiPKiS2_PKT2_iPS3_iPiS2_S7_21rocsparse_index_base_20rocsparse_diag_type_20rocsparse_direction_.num_vgpr, 16
	.set _ZN9rocsparseL24bsrsm_lower_large_kernelILj1024ELj16ELb0EfEEviiPKiS2_PKT2_iPS3_iPiS2_S7_21rocsparse_index_base_20rocsparse_diag_type_20rocsparse_direction_.num_agpr, 0
	.set _ZN9rocsparseL24bsrsm_lower_large_kernelILj1024ELj16ELb0EfEEviiPKiS2_PKT2_iPS3_iPiS2_S7_21rocsparse_index_base_20rocsparse_diag_type_20rocsparse_direction_.numbered_sgpr, 42
	.set _ZN9rocsparseL24bsrsm_lower_large_kernelILj1024ELj16ELb0EfEEviiPKiS2_PKT2_iPS3_iPiS2_S7_21rocsparse_index_base_20rocsparse_diag_type_20rocsparse_direction_.num_named_barrier, 0
	.set _ZN9rocsparseL24bsrsm_lower_large_kernelILj1024ELj16ELb0EfEEviiPKiS2_PKT2_iPS3_iPiS2_S7_21rocsparse_index_base_20rocsparse_diag_type_20rocsparse_direction_.private_seg_size, 0
	.set _ZN9rocsparseL24bsrsm_lower_large_kernelILj1024ELj16ELb0EfEEviiPKiS2_PKT2_iPS3_iPiS2_S7_21rocsparse_index_base_20rocsparse_diag_type_20rocsparse_direction_.uses_vcc, 1
	.set _ZN9rocsparseL24bsrsm_lower_large_kernelILj1024ELj16ELb0EfEEviiPKiS2_PKT2_iPS3_iPiS2_S7_21rocsparse_index_base_20rocsparse_diag_type_20rocsparse_direction_.uses_flat_scratch, 0
	.set _ZN9rocsparseL24bsrsm_lower_large_kernelILj1024ELj16ELb0EfEEviiPKiS2_PKT2_iPS3_iPiS2_S7_21rocsparse_index_base_20rocsparse_diag_type_20rocsparse_direction_.has_dyn_sized_stack, 0
	.set _ZN9rocsparseL24bsrsm_lower_large_kernelILj1024ELj16ELb0EfEEviiPKiS2_PKT2_iPS3_iPiS2_S7_21rocsparse_index_base_20rocsparse_diag_type_20rocsparse_direction_.has_recursion, 0
	.set _ZN9rocsparseL24bsrsm_lower_large_kernelILj1024ELj16ELb0EfEEviiPKiS2_PKT2_iPS3_iPiS2_S7_21rocsparse_index_base_20rocsparse_diag_type_20rocsparse_direction_.has_indirect_call, 0
	.section	.AMDGPU.csdata,"",@progbits
; Kernel info:
; codeLenInByte = 1468
; TotalNumSgprs: 46
; NumVgprs: 16
; ScratchSize: 0
; MemoryBound: 0
; FloatMode: 240
; IeeeMode: 1
; LDSByteSize: 0 bytes/workgroup (compile time only)
; SGPRBlocks: 5
; VGPRBlocks: 3
; NumSGPRsForWavesPerEU: 46
; NumVGPRsForWavesPerEU: 16
; Occupancy: 10
; WaveLimiterHint : 1
; COMPUTE_PGM_RSRC2:SCRATCH_EN: 0
; COMPUTE_PGM_RSRC2:USER_SGPR: 6
; COMPUTE_PGM_RSRC2:TRAP_HANDLER: 0
; COMPUTE_PGM_RSRC2:TGID_X_EN: 1
; COMPUTE_PGM_RSRC2:TGID_Y_EN: 0
; COMPUTE_PGM_RSRC2:TGID_Z_EN: 0
; COMPUTE_PGM_RSRC2:TIDIG_COMP_CNT: 0
	.section	.text._ZN9rocsparseL16bsrsm_copy_scaleILj1024EdEEviiNS_24const_host_device_scalarIT0_EEPKS2_lPS2_lb,"axG",@progbits,_ZN9rocsparseL16bsrsm_copy_scaleILj1024EdEEviiNS_24const_host_device_scalarIT0_EEPKS2_lPS2_lb,comdat
	.globl	_ZN9rocsparseL16bsrsm_copy_scaleILj1024EdEEviiNS_24const_host_device_scalarIT0_EEPKS2_lPS2_lb ; -- Begin function _ZN9rocsparseL16bsrsm_copy_scaleILj1024EdEEviiNS_24const_host_device_scalarIT0_EEPKS2_lPS2_lb
	.p2align	8
	.type	_ZN9rocsparseL16bsrsm_copy_scaleILj1024EdEEviiNS_24const_host_device_scalarIT0_EEPKS2_lPS2_lb,@function
_ZN9rocsparseL16bsrsm_copy_scaleILj1024EdEEviiNS_24const_host_device_scalarIT0_EEPKS2_lPS2_lb: ; @_ZN9rocsparseL16bsrsm_copy_scaleILj1024EdEEviiNS_24const_host_device_scalarIT0_EEPKS2_lPS2_lb
; %bb.0:
	s_load_dword s0, s[4:5], 0x30
	s_load_dwordx8 s[8:15], s[4:5], 0x8
	s_waitcnt lgkmcnt(0)
	s_bitcmp1_b32 s0, 0
	s_cselect_b64 s[0:1], -1, 0
	v_mov_b32_e32 v1, s8
	s_and_b64 vcc, exec, s[0:1]
	v_mov_b32_e32 v2, s9
	s_cbranch_vccnz .LBB16_2
; %bb.1:
	v_mov_b32_e32 v1, s8
	v_mov_b32_e32 v2, s9
	flat_load_dwordx2 v[1:2], v[1:2]
.LBB16_2:
	s_load_dword s2, s[4:5], 0x44
	s_load_dwordx2 s[0:1], s[4:5], 0x0
	s_waitcnt lgkmcnt(0)
	s_and_b32 s2, s2, 0xffff
	s_mul_i32 s6, s6, s2
	s_cmp_gt_i32 s1, 0
	v_add_u32_e32 v0, s6, v0
	v_cmp_gt_i32_e32 vcc, s0, v0
	s_cselect_b64 s[2:3], -1, 0
	s_and_b64 s[2:3], s[2:3], vcc
	s_and_saveexec_b64 s[6:7], s[2:3]
	s_cbranch_execz .LBB16_5
; %bb.3:
	s_load_dwordx2 s[2:3], s[4:5], 0x28
	v_ashrrev_i32_e32 v5, 31, v0
	v_mul_lo_u32 v7, s13, v0
	v_mul_lo_u32 v8, s12, v5
	v_mad_u64_u32 v[3:4], s[4:5], s12, v0, 0
	s_waitcnt lgkmcnt(0)
	v_mul_lo_u32 v9, s3, v0
	v_mul_lo_u32 v10, s2, v5
	v_mad_u64_u32 v[5:6], s[2:3], s2, v0, 0
	v_add3_u32 v4, v4, v8, v7
	v_lshlrev_b64 v[3:4], 3, v[3:4]
	v_add3_u32 v6, v6, v10, v9
	v_mov_b32_e32 v0, s11
	v_add_co_u32_e32 v3, vcc, s10, v3
	v_lshlrev_b64 v[5:6], 3, v[5:6]
	v_addc_co_u32_e32 v4, vcc, v0, v4, vcc
	v_mov_b32_e32 v0, s15
	v_add_co_u32_e32 v5, vcc, s14, v5
	v_addc_co_u32_e32 v6, vcc, v0, v6, vcc
.LBB16_4:                               ; =>This Inner Loop Header: Depth=1
	global_load_dwordx2 v[7:8], v[3:4], off
	v_add_co_u32_e32 v3, vcc, 8, v3
	v_addc_co_u32_e32 v4, vcc, 0, v4, vcc
	s_add_i32 s1, s1, -1
	s_cmp_lg_u32 s1, 0
	s_waitcnt vmcnt(0)
	v_mul_f64 v[7:8], v[1:2], v[7:8]
	global_store_dwordx2 v[5:6], v[7:8], off
	v_add_co_u32_e32 v5, vcc, 8, v5
	v_addc_co_u32_e32 v6, vcc, 0, v6, vcc
	s_cbranch_scc1 .LBB16_4
.LBB16_5:
	s_endpgm
	.section	.rodata,"a",@progbits
	.p2align	6, 0x0
	.amdhsa_kernel _ZN9rocsparseL16bsrsm_copy_scaleILj1024EdEEviiNS_24const_host_device_scalarIT0_EEPKS2_lPS2_lb
		.amdhsa_group_segment_fixed_size 0
		.amdhsa_private_segment_fixed_size 0
		.amdhsa_kernarg_size 312
		.amdhsa_user_sgpr_count 6
		.amdhsa_user_sgpr_private_segment_buffer 1
		.amdhsa_user_sgpr_dispatch_ptr 0
		.amdhsa_user_sgpr_queue_ptr 0
		.amdhsa_user_sgpr_kernarg_segment_ptr 1
		.amdhsa_user_sgpr_dispatch_id 0
		.amdhsa_user_sgpr_flat_scratch_init 0
		.amdhsa_user_sgpr_private_segment_size 0
		.amdhsa_uses_dynamic_stack 0
		.amdhsa_system_sgpr_private_segment_wavefront_offset 0
		.amdhsa_system_sgpr_workgroup_id_x 1
		.amdhsa_system_sgpr_workgroup_id_y 0
		.amdhsa_system_sgpr_workgroup_id_z 0
		.amdhsa_system_sgpr_workgroup_info 0
		.amdhsa_system_vgpr_workitem_id 0
		.amdhsa_next_free_vgpr 11
		.amdhsa_next_free_sgpr 16
		.amdhsa_reserve_vcc 1
		.amdhsa_reserve_flat_scratch 0
		.amdhsa_float_round_mode_32 0
		.amdhsa_float_round_mode_16_64 0
		.amdhsa_float_denorm_mode_32 3
		.amdhsa_float_denorm_mode_16_64 3
		.amdhsa_dx10_clamp 1
		.amdhsa_ieee_mode 1
		.amdhsa_fp16_overflow 0
		.amdhsa_exception_fp_ieee_invalid_op 0
		.amdhsa_exception_fp_denorm_src 0
		.amdhsa_exception_fp_ieee_div_zero 0
		.amdhsa_exception_fp_ieee_overflow 0
		.amdhsa_exception_fp_ieee_underflow 0
		.amdhsa_exception_fp_ieee_inexact 0
		.amdhsa_exception_int_div_zero 0
	.end_amdhsa_kernel
	.section	.text._ZN9rocsparseL16bsrsm_copy_scaleILj1024EdEEviiNS_24const_host_device_scalarIT0_EEPKS2_lPS2_lb,"axG",@progbits,_ZN9rocsparseL16bsrsm_copy_scaleILj1024EdEEviiNS_24const_host_device_scalarIT0_EEPKS2_lPS2_lb,comdat
.Lfunc_end16:
	.size	_ZN9rocsparseL16bsrsm_copy_scaleILj1024EdEEviiNS_24const_host_device_scalarIT0_EEPKS2_lPS2_lb, .Lfunc_end16-_ZN9rocsparseL16bsrsm_copy_scaleILj1024EdEEviiNS_24const_host_device_scalarIT0_EEPKS2_lPS2_lb
                                        ; -- End function
	.set _ZN9rocsparseL16bsrsm_copy_scaleILj1024EdEEviiNS_24const_host_device_scalarIT0_EEPKS2_lPS2_lb.num_vgpr, 11
	.set _ZN9rocsparseL16bsrsm_copy_scaleILj1024EdEEviiNS_24const_host_device_scalarIT0_EEPKS2_lPS2_lb.num_agpr, 0
	.set _ZN9rocsparseL16bsrsm_copy_scaleILj1024EdEEviiNS_24const_host_device_scalarIT0_EEPKS2_lPS2_lb.numbered_sgpr, 16
	.set _ZN9rocsparseL16bsrsm_copy_scaleILj1024EdEEviiNS_24const_host_device_scalarIT0_EEPKS2_lPS2_lb.num_named_barrier, 0
	.set _ZN9rocsparseL16bsrsm_copy_scaleILj1024EdEEviiNS_24const_host_device_scalarIT0_EEPKS2_lPS2_lb.private_seg_size, 0
	.set _ZN9rocsparseL16bsrsm_copy_scaleILj1024EdEEviiNS_24const_host_device_scalarIT0_EEPKS2_lPS2_lb.uses_vcc, 1
	.set _ZN9rocsparseL16bsrsm_copy_scaleILj1024EdEEviiNS_24const_host_device_scalarIT0_EEPKS2_lPS2_lb.uses_flat_scratch, 0
	.set _ZN9rocsparseL16bsrsm_copy_scaleILj1024EdEEviiNS_24const_host_device_scalarIT0_EEPKS2_lPS2_lb.has_dyn_sized_stack, 0
	.set _ZN9rocsparseL16bsrsm_copy_scaleILj1024EdEEviiNS_24const_host_device_scalarIT0_EEPKS2_lPS2_lb.has_recursion, 0
	.set _ZN9rocsparseL16bsrsm_copy_scaleILj1024EdEEviiNS_24const_host_device_scalarIT0_EEPKS2_lPS2_lb.has_indirect_call, 0
	.section	.AMDGPU.csdata,"",@progbits
; Kernel info:
; codeLenInByte = 300
; TotalNumSgprs: 20
; NumVgprs: 11
; ScratchSize: 0
; MemoryBound: 0
; FloatMode: 240
; IeeeMode: 1
; LDSByteSize: 0 bytes/workgroup (compile time only)
; SGPRBlocks: 2
; VGPRBlocks: 2
; NumSGPRsForWavesPerEU: 20
; NumVGPRsForWavesPerEU: 11
; Occupancy: 10
; WaveLimiterHint : 0
; COMPUTE_PGM_RSRC2:SCRATCH_EN: 0
; COMPUTE_PGM_RSRC2:USER_SGPR: 6
; COMPUTE_PGM_RSRC2:TRAP_HANDLER: 0
; COMPUTE_PGM_RSRC2:TGID_X_EN: 1
; COMPUTE_PGM_RSRC2:TGID_Y_EN: 0
; COMPUTE_PGM_RSRC2:TGID_Z_EN: 0
; COMPUTE_PGM_RSRC2:TIDIG_COMP_CNT: 0
	.section	.text._ZN9rocsparseL10bsr_gatherILj4ELj64ELj2EidEEv20rocsparse_direction_T2_PKS2_PKT3_PS5_S2_,"axG",@progbits,_ZN9rocsparseL10bsr_gatherILj4ELj64ELj2EidEEv20rocsparse_direction_T2_PKS2_PKT3_PS5_S2_,comdat
	.globl	_ZN9rocsparseL10bsr_gatherILj4ELj64ELj2EidEEv20rocsparse_direction_T2_PKS2_PKT3_PS5_S2_ ; -- Begin function _ZN9rocsparseL10bsr_gatherILj4ELj64ELj2EidEEv20rocsparse_direction_T2_PKS2_PKT3_PS5_S2_
	.p2align	8
	.type	_ZN9rocsparseL10bsr_gatherILj4ELj64ELj2EidEEv20rocsparse_direction_T2_PKS2_PKT3_PS5_S2_,@function
_ZN9rocsparseL10bsr_gatherILj4ELj64ELj2EidEEv20rocsparse_direction_T2_PKS2_PKT3_PS5_S2_: ; @_ZN9rocsparseL10bsr_gatherILj4ELj64ELj2EidEEv20rocsparse_direction_T2_PKS2_PKT3_PS5_S2_
; %bb.0:
	s_load_dwordx2 s[8:9], s[4:5], 0x0
	v_lshl_add_u32 v2, s6, 6, v1
	s_waitcnt lgkmcnt(0)
	v_cmp_gt_i32_e32 vcc, s9, v2
	s_and_saveexec_b64 s[0:1], vcc
	s_cbranch_execz .LBB17_15
; %bb.1:
	s_load_dword s16, s[4:5], 0x20
	v_and_b32_e32 v1, 1, v0
	s_waitcnt lgkmcnt(0)
	v_cmp_gt_i32_e32 vcc, s16, v1
	s_and_b64 exec, exec, vcc
	s_cbranch_execz .LBB17_15
; %bb.2:
	s_load_dwordx4 s[0:3], s[4:5], 0x8
	s_load_dwordx2 s[6:7], s[4:5], 0x18
	v_ashrrev_i32_e32 v3, 31, v2
	v_lshlrev_b64 v[3:4], 2, v[2:3]
	v_mul_lo_u32 v6, s16, v2
	s_waitcnt lgkmcnt(0)
	v_mov_b32_e32 v5, s1
	v_add_co_u32_e32 v3, vcc, s0, v3
	v_addc_co_u32_e32 v4, vcc, v5, v4, vcc
	global_load_dword v3, v[3:4], off
	v_add_u32_e32 v2, v6, v1
	v_mul_lo_u32 v8, s16, v2
	v_lshrrev_b32_e32 v0, 1, v0
	s_cmp_lg_u32 s8, 0
	v_cmp_gt_u32_e64 s[0:1], s16, v0
	s_cselect_b64 s[4:5], -1, 0
	s_lshl_b32 s17, s16, 1
	s_mov_b64 s[8:9], 0
	s_waitcnt vmcnt(0)
	v_mul_lo_u32 v7, v3, s16
	v_add_u32_e32 v2, v7, v1
	v_mul_lo_u32 v9, s16, v2
	s_branch .LBB17_4
.LBB17_3:                               ;   in Loop: Header=BB17_4 Depth=1
	s_or_b64 exec, exec, s[10:11]
	v_add_u32_e32 v1, 2, v1
	v_cmp_le_i32_e32 vcc, s16, v1
	v_add_u32_e32 v8, s17, v8
	s_or_b64 s[8:9], vcc, s[8:9]
	v_add_u32_e32 v9, s17, v9
	s_andn2_b64 exec, exec, s[8:9]
	s_cbranch_execz .LBB17_15
.LBB17_4:                               ; =>This Loop Header: Depth=1
                                        ;     Child Loop BB17_7 Depth 2
	s_and_saveexec_b64 s[10:11], s[0:1]
	s_cbranch_execz .LBB17_3
; %bb.5:                                ;   in Loop: Header=BB17_4 Depth=1
	s_mov_b64 s[12:13], 0
	v_mov_b32_e32 v10, v0
	s_branch .LBB17_7
.LBB17_6:                               ;   in Loop: Header=BB17_7 Depth=2
	v_ashrrev_i32_e32 v5, 31, v4
	v_lshlrev_b64 v[4:5], 3, v[4:5]
	v_mov_b32_e32 v11, s7
	v_add_co_u32_e32 v4, vcc, s6, v4
	v_addc_co_u32_e32 v5, vcc, v11, v5, vcc
	v_add_u32_e32 v10, 2, v10
	v_cmp_le_i32_e32 vcc, s16, v10
	s_or_b64 s[12:13], vcc, s[12:13]
	s_waitcnt vmcnt(0)
	global_store_dwordx2 v[4:5], v[2:3], off
	s_andn2_b64 exec, exec, s[12:13]
	s_cbranch_execz .LBB17_3
.LBB17_7:                               ;   Parent Loop BB17_4 Depth=1
                                        ; =>  This Inner Loop Header: Depth=2
	s_and_b64 vcc, exec, s[4:5]
	s_cbranch_vccz .LBB17_12
; %bb.8:                                ;   in Loop: Header=BB17_7 Depth=2
	v_add_u32_e32 v2, v9, v10
	s_cbranch_execnz .LBB17_10
.LBB17_9:                               ;   in Loop: Header=BB17_7 Depth=2
	v_add_u32_e32 v2, v10, v7
	v_mad_u64_u32 v[2:3], s[14:15], v2, s16, v[1:2]
.LBB17_10:                              ;   in Loop: Header=BB17_7 Depth=2
	v_ashrrev_i32_e32 v3, 31, v2
	v_lshlrev_b64 v[2:3], 3, v[2:3]
	v_mov_b32_e32 v4, s3
	v_add_co_u32_e32 v2, vcc, s2, v2
	v_addc_co_u32_e32 v3, vcc, v4, v3, vcc
	global_load_dwordx2 v[2:3], v[2:3], off
	s_and_b64 vcc, exec, s[4:5]
	s_cbranch_vccz .LBB17_13
; %bb.11:                               ;   in Loop: Header=BB17_7 Depth=2
	v_add_u32_e32 v4, v10, v6
	s_waitcnt vmcnt(0)
	v_mad_u64_u32 v[4:5], s[14:15], v4, s16, v[1:2]
	s_cbranch_execnz .LBB17_6
	s_branch .LBB17_14
.LBB17_12:                              ;   in Loop: Header=BB17_7 Depth=2
                                        ; implicit-def: $vgpr2
	s_branch .LBB17_9
.LBB17_13:                              ;   in Loop: Header=BB17_7 Depth=2
                                        ; implicit-def: $vgpr4
.LBB17_14:                              ;   in Loop: Header=BB17_7 Depth=2
	v_add_u32_e32 v4, v8, v10
	s_branch .LBB17_6
.LBB17_15:
	s_endpgm
	.section	.rodata,"a",@progbits
	.p2align	6, 0x0
	.amdhsa_kernel _ZN9rocsparseL10bsr_gatherILj4ELj64ELj2EidEEv20rocsparse_direction_T2_PKS2_PKT3_PS5_S2_
		.amdhsa_group_segment_fixed_size 0
		.amdhsa_private_segment_fixed_size 0
		.amdhsa_kernarg_size 36
		.amdhsa_user_sgpr_count 6
		.amdhsa_user_sgpr_private_segment_buffer 1
		.amdhsa_user_sgpr_dispatch_ptr 0
		.amdhsa_user_sgpr_queue_ptr 0
		.amdhsa_user_sgpr_kernarg_segment_ptr 1
		.amdhsa_user_sgpr_dispatch_id 0
		.amdhsa_user_sgpr_flat_scratch_init 0
		.amdhsa_user_sgpr_private_segment_size 0
		.amdhsa_uses_dynamic_stack 0
		.amdhsa_system_sgpr_private_segment_wavefront_offset 0
		.amdhsa_system_sgpr_workgroup_id_x 1
		.amdhsa_system_sgpr_workgroup_id_y 0
		.amdhsa_system_sgpr_workgroup_id_z 0
		.amdhsa_system_sgpr_workgroup_info 0
		.amdhsa_system_vgpr_workitem_id 1
		.amdhsa_next_free_vgpr 12
		.amdhsa_next_free_sgpr 18
		.amdhsa_reserve_vcc 1
		.amdhsa_reserve_flat_scratch 0
		.amdhsa_float_round_mode_32 0
		.amdhsa_float_round_mode_16_64 0
		.amdhsa_float_denorm_mode_32 3
		.amdhsa_float_denorm_mode_16_64 3
		.amdhsa_dx10_clamp 1
		.amdhsa_ieee_mode 1
		.amdhsa_fp16_overflow 0
		.amdhsa_exception_fp_ieee_invalid_op 0
		.amdhsa_exception_fp_denorm_src 0
		.amdhsa_exception_fp_ieee_div_zero 0
		.amdhsa_exception_fp_ieee_overflow 0
		.amdhsa_exception_fp_ieee_underflow 0
		.amdhsa_exception_fp_ieee_inexact 0
		.amdhsa_exception_int_div_zero 0
	.end_amdhsa_kernel
	.section	.text._ZN9rocsparseL10bsr_gatherILj4ELj64ELj2EidEEv20rocsparse_direction_T2_PKS2_PKT3_PS5_S2_,"axG",@progbits,_ZN9rocsparseL10bsr_gatherILj4ELj64ELj2EidEEv20rocsparse_direction_T2_PKS2_PKT3_PS5_S2_,comdat
.Lfunc_end17:
	.size	_ZN9rocsparseL10bsr_gatherILj4ELj64ELj2EidEEv20rocsparse_direction_T2_PKS2_PKT3_PS5_S2_, .Lfunc_end17-_ZN9rocsparseL10bsr_gatherILj4ELj64ELj2EidEEv20rocsparse_direction_T2_PKS2_PKT3_PS5_S2_
                                        ; -- End function
	.set _ZN9rocsparseL10bsr_gatherILj4ELj64ELj2EidEEv20rocsparse_direction_T2_PKS2_PKT3_PS5_S2_.num_vgpr, 12
	.set _ZN9rocsparseL10bsr_gatherILj4ELj64ELj2EidEEv20rocsparse_direction_T2_PKS2_PKT3_PS5_S2_.num_agpr, 0
	.set _ZN9rocsparseL10bsr_gatherILj4ELj64ELj2EidEEv20rocsparse_direction_T2_PKS2_PKT3_PS5_S2_.numbered_sgpr, 18
	.set _ZN9rocsparseL10bsr_gatherILj4ELj64ELj2EidEEv20rocsparse_direction_T2_PKS2_PKT3_PS5_S2_.num_named_barrier, 0
	.set _ZN9rocsparseL10bsr_gatherILj4ELj64ELj2EidEEv20rocsparse_direction_T2_PKS2_PKT3_PS5_S2_.private_seg_size, 0
	.set _ZN9rocsparseL10bsr_gatherILj4ELj64ELj2EidEEv20rocsparse_direction_T2_PKS2_PKT3_PS5_S2_.uses_vcc, 1
	.set _ZN9rocsparseL10bsr_gatherILj4ELj64ELj2EidEEv20rocsparse_direction_T2_PKS2_PKT3_PS5_S2_.uses_flat_scratch, 0
	.set _ZN9rocsparseL10bsr_gatherILj4ELj64ELj2EidEEv20rocsparse_direction_T2_PKS2_PKT3_PS5_S2_.has_dyn_sized_stack, 0
	.set _ZN9rocsparseL10bsr_gatherILj4ELj64ELj2EidEEv20rocsparse_direction_T2_PKS2_PKT3_PS5_S2_.has_recursion, 0
	.set _ZN9rocsparseL10bsr_gatherILj4ELj64ELj2EidEEv20rocsparse_direction_T2_PKS2_PKT3_PS5_S2_.has_indirect_call, 0
	.section	.AMDGPU.csdata,"",@progbits
; Kernel info:
; codeLenInByte = 404
; TotalNumSgprs: 22
; NumVgprs: 12
; ScratchSize: 0
; MemoryBound: 0
; FloatMode: 240
; IeeeMode: 1
; LDSByteSize: 0 bytes/workgroup (compile time only)
; SGPRBlocks: 2
; VGPRBlocks: 2
; NumSGPRsForWavesPerEU: 22
; NumVGPRsForWavesPerEU: 12
; Occupancy: 10
; WaveLimiterHint : 0
; COMPUTE_PGM_RSRC2:SCRATCH_EN: 0
; COMPUTE_PGM_RSRC2:USER_SGPR: 6
; COMPUTE_PGM_RSRC2:TRAP_HANDLER: 0
; COMPUTE_PGM_RSRC2:TGID_X_EN: 1
; COMPUTE_PGM_RSRC2:TGID_Y_EN: 0
; COMPUTE_PGM_RSRC2:TGID_Z_EN: 0
; COMPUTE_PGM_RSRC2:TIDIG_COMP_CNT: 1
	.section	.text._ZN9rocsparseL10bsr_gatherILj16ELj16ELj4EidEEv20rocsparse_direction_T2_PKS2_PKT3_PS5_S2_,"axG",@progbits,_ZN9rocsparseL10bsr_gatherILj16ELj16ELj4EidEEv20rocsparse_direction_T2_PKS2_PKT3_PS5_S2_,comdat
	.globl	_ZN9rocsparseL10bsr_gatherILj16ELj16ELj4EidEEv20rocsparse_direction_T2_PKS2_PKT3_PS5_S2_ ; -- Begin function _ZN9rocsparseL10bsr_gatherILj16ELj16ELj4EidEEv20rocsparse_direction_T2_PKS2_PKT3_PS5_S2_
	.p2align	8
	.type	_ZN9rocsparseL10bsr_gatherILj16ELj16ELj4EidEEv20rocsparse_direction_T2_PKS2_PKT3_PS5_S2_,@function
_ZN9rocsparseL10bsr_gatherILj16ELj16ELj4EidEEv20rocsparse_direction_T2_PKS2_PKT3_PS5_S2_: ; @_ZN9rocsparseL10bsr_gatherILj16ELj16ELj4EidEEv20rocsparse_direction_T2_PKS2_PKT3_PS5_S2_
; %bb.0:
	s_load_dwordx2 s[8:9], s[4:5], 0x0
	v_lshl_add_u32 v2, s6, 4, v1
	s_waitcnt lgkmcnt(0)
	v_cmp_gt_i32_e32 vcc, s9, v2
	s_and_saveexec_b64 s[0:1], vcc
	s_cbranch_execz .LBB18_15
; %bb.1:
	s_load_dword s16, s[4:5], 0x20
	v_and_b32_e32 v1, 3, v0
	s_waitcnt lgkmcnt(0)
	v_cmp_gt_i32_e32 vcc, s16, v1
	s_and_b64 exec, exec, vcc
	s_cbranch_execz .LBB18_15
; %bb.2:
	s_load_dwordx4 s[0:3], s[4:5], 0x8
	s_load_dwordx2 s[6:7], s[4:5], 0x18
	v_ashrrev_i32_e32 v3, 31, v2
	v_lshlrev_b64 v[3:4], 2, v[2:3]
	v_mul_lo_u32 v6, s16, v2
	s_waitcnt lgkmcnt(0)
	v_mov_b32_e32 v5, s1
	v_add_co_u32_e32 v3, vcc, s0, v3
	v_addc_co_u32_e32 v4, vcc, v5, v4, vcc
	global_load_dword v3, v[3:4], off
	v_add_u32_e32 v2, v6, v1
	v_mul_lo_u32 v8, s16, v2
	v_lshrrev_b32_e32 v0, 2, v0
	s_cmp_lg_u32 s8, 0
	v_cmp_gt_u32_e64 s[0:1], s16, v0
	s_cselect_b64 s[4:5], -1, 0
	s_lshl_b32 s17, s16, 2
	s_mov_b64 s[8:9], 0
	s_waitcnt vmcnt(0)
	v_mul_lo_u32 v7, v3, s16
	v_add_u32_e32 v2, v7, v1
	v_mul_lo_u32 v9, s16, v2
	s_branch .LBB18_4
.LBB18_3:                               ;   in Loop: Header=BB18_4 Depth=1
	s_or_b64 exec, exec, s[10:11]
	v_add_u32_e32 v1, 4, v1
	v_cmp_le_i32_e32 vcc, s16, v1
	v_add_u32_e32 v8, s17, v8
	s_or_b64 s[8:9], vcc, s[8:9]
	v_add_u32_e32 v9, s17, v9
	s_andn2_b64 exec, exec, s[8:9]
	s_cbranch_execz .LBB18_15
.LBB18_4:                               ; =>This Loop Header: Depth=1
                                        ;     Child Loop BB18_7 Depth 2
	s_and_saveexec_b64 s[10:11], s[0:1]
	s_cbranch_execz .LBB18_3
; %bb.5:                                ;   in Loop: Header=BB18_4 Depth=1
	s_mov_b64 s[12:13], 0
	v_mov_b32_e32 v10, v0
	s_branch .LBB18_7
.LBB18_6:                               ;   in Loop: Header=BB18_7 Depth=2
	v_ashrrev_i32_e32 v5, 31, v4
	v_lshlrev_b64 v[4:5], 3, v[4:5]
	v_mov_b32_e32 v11, s7
	v_add_co_u32_e32 v4, vcc, s6, v4
	v_addc_co_u32_e32 v5, vcc, v11, v5, vcc
	v_add_u32_e32 v10, 4, v10
	v_cmp_le_i32_e32 vcc, s16, v10
	s_or_b64 s[12:13], vcc, s[12:13]
	s_waitcnt vmcnt(0)
	global_store_dwordx2 v[4:5], v[2:3], off
	s_andn2_b64 exec, exec, s[12:13]
	s_cbranch_execz .LBB18_3
.LBB18_7:                               ;   Parent Loop BB18_4 Depth=1
                                        ; =>  This Inner Loop Header: Depth=2
	s_and_b64 vcc, exec, s[4:5]
	s_cbranch_vccz .LBB18_12
; %bb.8:                                ;   in Loop: Header=BB18_7 Depth=2
	v_add_u32_e32 v2, v9, v10
	s_cbranch_execnz .LBB18_10
.LBB18_9:                               ;   in Loop: Header=BB18_7 Depth=2
	v_add_u32_e32 v2, v10, v7
	v_mad_u64_u32 v[2:3], s[14:15], v2, s16, v[1:2]
.LBB18_10:                              ;   in Loop: Header=BB18_7 Depth=2
	v_ashrrev_i32_e32 v3, 31, v2
	v_lshlrev_b64 v[2:3], 3, v[2:3]
	v_mov_b32_e32 v4, s3
	v_add_co_u32_e32 v2, vcc, s2, v2
	v_addc_co_u32_e32 v3, vcc, v4, v3, vcc
	global_load_dwordx2 v[2:3], v[2:3], off
	s_and_b64 vcc, exec, s[4:5]
	s_cbranch_vccz .LBB18_13
; %bb.11:                               ;   in Loop: Header=BB18_7 Depth=2
	v_add_u32_e32 v4, v10, v6
	s_waitcnt vmcnt(0)
	v_mad_u64_u32 v[4:5], s[14:15], v4, s16, v[1:2]
	s_cbranch_execnz .LBB18_6
	s_branch .LBB18_14
.LBB18_12:                              ;   in Loop: Header=BB18_7 Depth=2
                                        ; implicit-def: $vgpr2
	s_branch .LBB18_9
.LBB18_13:                              ;   in Loop: Header=BB18_7 Depth=2
                                        ; implicit-def: $vgpr4
.LBB18_14:                              ;   in Loop: Header=BB18_7 Depth=2
	v_add_u32_e32 v4, v8, v10
	s_branch .LBB18_6
.LBB18_15:
	s_endpgm
	.section	.rodata,"a",@progbits
	.p2align	6, 0x0
	.amdhsa_kernel _ZN9rocsparseL10bsr_gatherILj16ELj16ELj4EidEEv20rocsparse_direction_T2_PKS2_PKT3_PS5_S2_
		.amdhsa_group_segment_fixed_size 0
		.amdhsa_private_segment_fixed_size 0
		.amdhsa_kernarg_size 36
		.amdhsa_user_sgpr_count 6
		.amdhsa_user_sgpr_private_segment_buffer 1
		.amdhsa_user_sgpr_dispatch_ptr 0
		.amdhsa_user_sgpr_queue_ptr 0
		.amdhsa_user_sgpr_kernarg_segment_ptr 1
		.amdhsa_user_sgpr_dispatch_id 0
		.amdhsa_user_sgpr_flat_scratch_init 0
		.amdhsa_user_sgpr_private_segment_size 0
		.amdhsa_uses_dynamic_stack 0
		.amdhsa_system_sgpr_private_segment_wavefront_offset 0
		.amdhsa_system_sgpr_workgroup_id_x 1
		.amdhsa_system_sgpr_workgroup_id_y 0
		.amdhsa_system_sgpr_workgroup_id_z 0
		.amdhsa_system_sgpr_workgroup_info 0
		.amdhsa_system_vgpr_workitem_id 1
		.amdhsa_next_free_vgpr 12
		.amdhsa_next_free_sgpr 18
		.amdhsa_reserve_vcc 1
		.amdhsa_reserve_flat_scratch 0
		.amdhsa_float_round_mode_32 0
		.amdhsa_float_round_mode_16_64 0
		.amdhsa_float_denorm_mode_32 3
		.amdhsa_float_denorm_mode_16_64 3
		.amdhsa_dx10_clamp 1
		.amdhsa_ieee_mode 1
		.amdhsa_fp16_overflow 0
		.amdhsa_exception_fp_ieee_invalid_op 0
		.amdhsa_exception_fp_denorm_src 0
		.amdhsa_exception_fp_ieee_div_zero 0
		.amdhsa_exception_fp_ieee_overflow 0
		.amdhsa_exception_fp_ieee_underflow 0
		.amdhsa_exception_fp_ieee_inexact 0
		.amdhsa_exception_int_div_zero 0
	.end_amdhsa_kernel
	.section	.text._ZN9rocsparseL10bsr_gatherILj16ELj16ELj4EidEEv20rocsparse_direction_T2_PKS2_PKT3_PS5_S2_,"axG",@progbits,_ZN9rocsparseL10bsr_gatherILj16ELj16ELj4EidEEv20rocsparse_direction_T2_PKS2_PKT3_PS5_S2_,comdat
.Lfunc_end18:
	.size	_ZN9rocsparseL10bsr_gatherILj16ELj16ELj4EidEEv20rocsparse_direction_T2_PKS2_PKT3_PS5_S2_, .Lfunc_end18-_ZN9rocsparseL10bsr_gatherILj16ELj16ELj4EidEEv20rocsparse_direction_T2_PKS2_PKT3_PS5_S2_
                                        ; -- End function
	.set _ZN9rocsparseL10bsr_gatherILj16ELj16ELj4EidEEv20rocsparse_direction_T2_PKS2_PKT3_PS5_S2_.num_vgpr, 12
	.set _ZN9rocsparseL10bsr_gatherILj16ELj16ELj4EidEEv20rocsparse_direction_T2_PKS2_PKT3_PS5_S2_.num_agpr, 0
	.set _ZN9rocsparseL10bsr_gatherILj16ELj16ELj4EidEEv20rocsparse_direction_T2_PKS2_PKT3_PS5_S2_.numbered_sgpr, 18
	.set _ZN9rocsparseL10bsr_gatherILj16ELj16ELj4EidEEv20rocsparse_direction_T2_PKS2_PKT3_PS5_S2_.num_named_barrier, 0
	.set _ZN9rocsparseL10bsr_gatherILj16ELj16ELj4EidEEv20rocsparse_direction_T2_PKS2_PKT3_PS5_S2_.private_seg_size, 0
	.set _ZN9rocsparseL10bsr_gatherILj16ELj16ELj4EidEEv20rocsparse_direction_T2_PKS2_PKT3_PS5_S2_.uses_vcc, 1
	.set _ZN9rocsparseL10bsr_gatherILj16ELj16ELj4EidEEv20rocsparse_direction_T2_PKS2_PKT3_PS5_S2_.uses_flat_scratch, 0
	.set _ZN9rocsparseL10bsr_gatherILj16ELj16ELj4EidEEv20rocsparse_direction_T2_PKS2_PKT3_PS5_S2_.has_dyn_sized_stack, 0
	.set _ZN9rocsparseL10bsr_gatherILj16ELj16ELj4EidEEv20rocsparse_direction_T2_PKS2_PKT3_PS5_S2_.has_recursion, 0
	.set _ZN9rocsparseL10bsr_gatherILj16ELj16ELj4EidEEv20rocsparse_direction_T2_PKS2_PKT3_PS5_S2_.has_indirect_call, 0
	.section	.AMDGPU.csdata,"",@progbits
; Kernel info:
; codeLenInByte = 404
; TotalNumSgprs: 22
; NumVgprs: 12
; ScratchSize: 0
; MemoryBound: 0
; FloatMode: 240
; IeeeMode: 1
; LDSByteSize: 0 bytes/workgroup (compile time only)
; SGPRBlocks: 2
; VGPRBlocks: 2
; NumSGPRsForWavesPerEU: 22
; NumVGPRsForWavesPerEU: 12
; Occupancy: 10
; WaveLimiterHint : 0
; COMPUTE_PGM_RSRC2:SCRATCH_EN: 0
; COMPUTE_PGM_RSRC2:USER_SGPR: 6
; COMPUTE_PGM_RSRC2:TRAP_HANDLER: 0
; COMPUTE_PGM_RSRC2:TGID_X_EN: 1
; COMPUTE_PGM_RSRC2:TGID_Y_EN: 0
; COMPUTE_PGM_RSRC2:TGID_Z_EN: 0
; COMPUTE_PGM_RSRC2:TIDIG_COMP_CNT: 1
	.section	.text._ZN9rocsparseL10bsr_gatherILj64ELj4ELj8EidEEv20rocsparse_direction_T2_PKS2_PKT3_PS5_S2_,"axG",@progbits,_ZN9rocsparseL10bsr_gatherILj64ELj4ELj8EidEEv20rocsparse_direction_T2_PKS2_PKT3_PS5_S2_,comdat
	.globl	_ZN9rocsparseL10bsr_gatherILj64ELj4ELj8EidEEv20rocsparse_direction_T2_PKS2_PKT3_PS5_S2_ ; -- Begin function _ZN9rocsparseL10bsr_gatherILj64ELj4ELj8EidEEv20rocsparse_direction_T2_PKS2_PKT3_PS5_S2_
	.p2align	8
	.type	_ZN9rocsparseL10bsr_gatherILj64ELj4ELj8EidEEv20rocsparse_direction_T2_PKS2_PKT3_PS5_S2_,@function
_ZN9rocsparseL10bsr_gatherILj64ELj4ELj8EidEEv20rocsparse_direction_T2_PKS2_PKT3_PS5_S2_: ; @_ZN9rocsparseL10bsr_gatherILj64ELj4ELj8EidEEv20rocsparse_direction_T2_PKS2_PKT3_PS5_S2_
; %bb.0:
	s_load_dwordx2 s[8:9], s[4:5], 0x0
	v_lshl_add_u32 v2, s6, 2, v1
	s_waitcnt lgkmcnt(0)
	v_cmp_gt_i32_e32 vcc, s9, v2
	s_and_saveexec_b64 s[0:1], vcc
	s_cbranch_execz .LBB19_15
; %bb.1:
	s_load_dword s16, s[4:5], 0x20
	v_and_b32_e32 v1, 7, v0
	s_waitcnt lgkmcnt(0)
	v_cmp_gt_i32_e32 vcc, s16, v1
	s_and_b64 exec, exec, vcc
	s_cbranch_execz .LBB19_15
; %bb.2:
	s_load_dwordx4 s[0:3], s[4:5], 0x8
	s_load_dwordx2 s[6:7], s[4:5], 0x18
	v_ashrrev_i32_e32 v3, 31, v2
	v_lshlrev_b64 v[3:4], 2, v[2:3]
	v_mul_lo_u32 v6, s16, v2
	s_waitcnt lgkmcnt(0)
	v_mov_b32_e32 v5, s1
	v_add_co_u32_e32 v3, vcc, s0, v3
	v_addc_co_u32_e32 v4, vcc, v5, v4, vcc
	global_load_dword v3, v[3:4], off
	v_add_u32_e32 v2, v6, v1
	v_mul_lo_u32 v8, s16, v2
	v_lshrrev_b32_e32 v0, 3, v0
	s_cmp_lg_u32 s8, 0
	v_cmp_gt_u32_e64 s[0:1], s16, v0
	s_cselect_b64 s[4:5], -1, 0
	s_lshl_b32 s17, s16, 3
	s_mov_b64 s[8:9], 0
	s_waitcnt vmcnt(0)
	v_mul_lo_u32 v7, v3, s16
	v_add_u32_e32 v2, v7, v1
	v_mul_lo_u32 v9, s16, v2
	s_branch .LBB19_4
.LBB19_3:                               ;   in Loop: Header=BB19_4 Depth=1
	s_or_b64 exec, exec, s[10:11]
	v_add_u32_e32 v1, 8, v1
	v_cmp_le_i32_e32 vcc, s16, v1
	v_add_u32_e32 v8, s17, v8
	s_or_b64 s[8:9], vcc, s[8:9]
	v_add_u32_e32 v9, s17, v9
	s_andn2_b64 exec, exec, s[8:9]
	s_cbranch_execz .LBB19_15
.LBB19_4:                               ; =>This Loop Header: Depth=1
                                        ;     Child Loop BB19_7 Depth 2
	s_and_saveexec_b64 s[10:11], s[0:1]
	s_cbranch_execz .LBB19_3
; %bb.5:                                ;   in Loop: Header=BB19_4 Depth=1
	s_mov_b64 s[12:13], 0
	v_mov_b32_e32 v10, v0
	s_branch .LBB19_7
.LBB19_6:                               ;   in Loop: Header=BB19_7 Depth=2
	v_ashrrev_i32_e32 v5, 31, v4
	v_lshlrev_b64 v[4:5], 3, v[4:5]
	v_mov_b32_e32 v11, s7
	v_add_co_u32_e32 v4, vcc, s6, v4
	v_addc_co_u32_e32 v5, vcc, v11, v5, vcc
	v_add_u32_e32 v10, 8, v10
	v_cmp_le_i32_e32 vcc, s16, v10
	s_or_b64 s[12:13], vcc, s[12:13]
	s_waitcnt vmcnt(0)
	global_store_dwordx2 v[4:5], v[2:3], off
	s_andn2_b64 exec, exec, s[12:13]
	s_cbranch_execz .LBB19_3
.LBB19_7:                               ;   Parent Loop BB19_4 Depth=1
                                        ; =>  This Inner Loop Header: Depth=2
	s_and_b64 vcc, exec, s[4:5]
	s_cbranch_vccz .LBB19_12
; %bb.8:                                ;   in Loop: Header=BB19_7 Depth=2
	v_add_u32_e32 v2, v9, v10
	s_cbranch_execnz .LBB19_10
.LBB19_9:                               ;   in Loop: Header=BB19_7 Depth=2
	v_add_u32_e32 v2, v10, v7
	v_mad_u64_u32 v[2:3], s[14:15], v2, s16, v[1:2]
.LBB19_10:                              ;   in Loop: Header=BB19_7 Depth=2
	v_ashrrev_i32_e32 v3, 31, v2
	v_lshlrev_b64 v[2:3], 3, v[2:3]
	v_mov_b32_e32 v4, s3
	v_add_co_u32_e32 v2, vcc, s2, v2
	v_addc_co_u32_e32 v3, vcc, v4, v3, vcc
	global_load_dwordx2 v[2:3], v[2:3], off
	s_and_b64 vcc, exec, s[4:5]
	s_cbranch_vccz .LBB19_13
; %bb.11:                               ;   in Loop: Header=BB19_7 Depth=2
	v_add_u32_e32 v4, v10, v6
	s_waitcnt vmcnt(0)
	v_mad_u64_u32 v[4:5], s[14:15], v4, s16, v[1:2]
	s_cbranch_execnz .LBB19_6
	s_branch .LBB19_14
.LBB19_12:                              ;   in Loop: Header=BB19_7 Depth=2
                                        ; implicit-def: $vgpr2
	s_branch .LBB19_9
.LBB19_13:                              ;   in Loop: Header=BB19_7 Depth=2
                                        ; implicit-def: $vgpr4
.LBB19_14:                              ;   in Loop: Header=BB19_7 Depth=2
	v_add_u32_e32 v4, v8, v10
	s_branch .LBB19_6
.LBB19_15:
	s_endpgm
	.section	.rodata,"a",@progbits
	.p2align	6, 0x0
	.amdhsa_kernel _ZN9rocsparseL10bsr_gatherILj64ELj4ELj8EidEEv20rocsparse_direction_T2_PKS2_PKT3_PS5_S2_
		.amdhsa_group_segment_fixed_size 0
		.amdhsa_private_segment_fixed_size 0
		.amdhsa_kernarg_size 36
		.amdhsa_user_sgpr_count 6
		.amdhsa_user_sgpr_private_segment_buffer 1
		.amdhsa_user_sgpr_dispatch_ptr 0
		.amdhsa_user_sgpr_queue_ptr 0
		.amdhsa_user_sgpr_kernarg_segment_ptr 1
		.amdhsa_user_sgpr_dispatch_id 0
		.amdhsa_user_sgpr_flat_scratch_init 0
		.amdhsa_user_sgpr_private_segment_size 0
		.amdhsa_uses_dynamic_stack 0
		.amdhsa_system_sgpr_private_segment_wavefront_offset 0
		.amdhsa_system_sgpr_workgroup_id_x 1
		.amdhsa_system_sgpr_workgroup_id_y 0
		.amdhsa_system_sgpr_workgroup_id_z 0
		.amdhsa_system_sgpr_workgroup_info 0
		.amdhsa_system_vgpr_workitem_id 1
		.amdhsa_next_free_vgpr 12
		.amdhsa_next_free_sgpr 18
		.amdhsa_reserve_vcc 1
		.amdhsa_reserve_flat_scratch 0
		.amdhsa_float_round_mode_32 0
		.amdhsa_float_round_mode_16_64 0
		.amdhsa_float_denorm_mode_32 3
		.amdhsa_float_denorm_mode_16_64 3
		.amdhsa_dx10_clamp 1
		.amdhsa_ieee_mode 1
		.amdhsa_fp16_overflow 0
		.amdhsa_exception_fp_ieee_invalid_op 0
		.amdhsa_exception_fp_denorm_src 0
		.amdhsa_exception_fp_ieee_div_zero 0
		.amdhsa_exception_fp_ieee_overflow 0
		.amdhsa_exception_fp_ieee_underflow 0
		.amdhsa_exception_fp_ieee_inexact 0
		.amdhsa_exception_int_div_zero 0
	.end_amdhsa_kernel
	.section	.text._ZN9rocsparseL10bsr_gatherILj64ELj4ELj8EidEEv20rocsparse_direction_T2_PKS2_PKT3_PS5_S2_,"axG",@progbits,_ZN9rocsparseL10bsr_gatherILj64ELj4ELj8EidEEv20rocsparse_direction_T2_PKS2_PKT3_PS5_S2_,comdat
.Lfunc_end19:
	.size	_ZN9rocsparseL10bsr_gatherILj64ELj4ELj8EidEEv20rocsparse_direction_T2_PKS2_PKT3_PS5_S2_, .Lfunc_end19-_ZN9rocsparseL10bsr_gatherILj64ELj4ELj8EidEEv20rocsparse_direction_T2_PKS2_PKT3_PS5_S2_
                                        ; -- End function
	.set _ZN9rocsparseL10bsr_gatherILj64ELj4ELj8EidEEv20rocsparse_direction_T2_PKS2_PKT3_PS5_S2_.num_vgpr, 12
	.set _ZN9rocsparseL10bsr_gatherILj64ELj4ELj8EidEEv20rocsparse_direction_T2_PKS2_PKT3_PS5_S2_.num_agpr, 0
	.set _ZN9rocsparseL10bsr_gatherILj64ELj4ELj8EidEEv20rocsparse_direction_T2_PKS2_PKT3_PS5_S2_.numbered_sgpr, 18
	.set _ZN9rocsparseL10bsr_gatherILj64ELj4ELj8EidEEv20rocsparse_direction_T2_PKS2_PKT3_PS5_S2_.num_named_barrier, 0
	.set _ZN9rocsparseL10bsr_gatherILj64ELj4ELj8EidEEv20rocsparse_direction_T2_PKS2_PKT3_PS5_S2_.private_seg_size, 0
	.set _ZN9rocsparseL10bsr_gatherILj64ELj4ELj8EidEEv20rocsparse_direction_T2_PKS2_PKT3_PS5_S2_.uses_vcc, 1
	.set _ZN9rocsparseL10bsr_gatherILj64ELj4ELj8EidEEv20rocsparse_direction_T2_PKS2_PKT3_PS5_S2_.uses_flat_scratch, 0
	.set _ZN9rocsparseL10bsr_gatherILj64ELj4ELj8EidEEv20rocsparse_direction_T2_PKS2_PKT3_PS5_S2_.has_dyn_sized_stack, 0
	.set _ZN9rocsparseL10bsr_gatherILj64ELj4ELj8EidEEv20rocsparse_direction_T2_PKS2_PKT3_PS5_S2_.has_recursion, 0
	.set _ZN9rocsparseL10bsr_gatherILj64ELj4ELj8EidEEv20rocsparse_direction_T2_PKS2_PKT3_PS5_S2_.has_indirect_call, 0
	.section	.AMDGPU.csdata,"",@progbits
; Kernel info:
; codeLenInByte = 404
; TotalNumSgprs: 22
; NumVgprs: 12
; ScratchSize: 0
; MemoryBound: 0
; FloatMode: 240
; IeeeMode: 1
; LDSByteSize: 0 bytes/workgroup (compile time only)
; SGPRBlocks: 2
; VGPRBlocks: 2
; NumSGPRsForWavesPerEU: 22
; NumVGPRsForWavesPerEU: 12
; Occupancy: 10
; WaveLimiterHint : 0
; COMPUTE_PGM_RSRC2:SCRATCH_EN: 0
; COMPUTE_PGM_RSRC2:USER_SGPR: 6
; COMPUTE_PGM_RSRC2:TRAP_HANDLER: 0
; COMPUTE_PGM_RSRC2:TGID_X_EN: 1
; COMPUTE_PGM_RSRC2:TGID_Y_EN: 0
; COMPUTE_PGM_RSRC2:TGID_Z_EN: 0
; COMPUTE_PGM_RSRC2:TIDIG_COMP_CNT: 1
	.section	.text._ZN9rocsparseL24bsrsm_upper_large_kernelILj256ELj16ELb1EdEEviiPKiS2_PKT2_iPS3_iPiS2_S7_21rocsparse_index_base_20rocsparse_diag_type_20rocsparse_direction_,"axG",@progbits,_ZN9rocsparseL24bsrsm_upper_large_kernelILj256ELj16ELb1EdEEviiPKiS2_PKT2_iPS3_iPiS2_S7_21rocsparse_index_base_20rocsparse_diag_type_20rocsparse_direction_,comdat
	.globl	_ZN9rocsparseL24bsrsm_upper_large_kernelILj256ELj16ELb1EdEEviiPKiS2_PKT2_iPS3_iPiS2_S7_21rocsparse_index_base_20rocsparse_diag_type_20rocsparse_direction_ ; -- Begin function _ZN9rocsparseL24bsrsm_upper_large_kernelILj256ELj16ELb1EdEEviiPKiS2_PKT2_iPS3_iPiS2_S7_21rocsparse_index_base_20rocsparse_diag_type_20rocsparse_direction_
	.p2align	8
	.type	_ZN9rocsparseL24bsrsm_upper_large_kernelILj256ELj16ELb1EdEEviiPKiS2_PKT2_iPS3_iPiS2_S7_21rocsparse_index_base_20rocsparse_diag_type_20rocsparse_direction_,@function
_ZN9rocsparseL24bsrsm_upper_large_kernelILj256ELj16ELb1EdEEviiPKiS2_PKT2_iPS3_iPiS2_S7_21rocsparse_index_base_20rocsparse_diag_type_20rocsparse_direction_: ; @_ZN9rocsparseL24bsrsm_upper_large_kernelILj256ELj16ELb1EdEEviiPKiS2_PKT2_iPS3_iPiS2_S7_21rocsparse_index_base_20rocsparse_diag_type_20rocsparse_direction_
; %bb.0:
	s_load_dwordx2 s[24:25], s[4:5], 0x0
	s_load_dwordx4 s[16:19], s[4:5], 0x8
	s_load_dwordx4 s[8:11], s[4:5], 0x38
	s_load_dwordx2 s[20:21], s[4:5], 0x48
	v_lshrrev_b32_e32 v7, 4, v0
	v_and_b32_e32 v8, 15, v0
	s_waitcnt lgkmcnt(0)
	v_cvt_f32_u32_e32 v1, s24
	s_sub_i32 s0, 0, s24
	v_rcp_iflag_f32_e32 v1, v1
	v_mul_f32_e32 v1, 0x4f7ffffe, v1
	v_cvt_u32_f32_e32 v1, v1
	v_readfirstlane_b32 s1, v1
	s_mul_i32 s0, s0, s1
	s_mul_hi_u32 s0, s1, s0
	s_add_i32 s1, s1, s0
	s_mul_hi_u32 s0, s6, s1
	s_mul_i32 s1, s0, s24
	s_sub_i32 s1, s6, s1
	s_add_i32 s2, s0, 1
	s_sub_i32 s3, s1, s24
	s_cmp_ge_u32 s1, s24
	s_cselect_b32 s0, s2, s0
	s_cselect_b32 s1, s3, s1
	s_add_i32 s2, s0, 1
	s_cmp_ge_u32 s1, s24
	s_cselect_b32 s26, s2, s0
	s_mul_i32 s33, s26, s24
	s_sub_i32 s0, s6, s33
	s_ashr_i32 s1, s0, 31
	s_lshl_b64 s[0:1], s[0:1], 2
	s_add_u32 s0, s10, s0
	s_addc_u32 s1, s11, s1
	s_load_dword s6, s[0:1], 0x0
	s_load_dwordx2 s[10:11], s[4:5], 0x18
	s_load_dword s34, s[4:5], 0x20
	s_load_dwordx2 s[22:23], s[4:5], 0x28
	s_load_dword s35, s[4:5], 0x30
	s_load_dwordx4 s[12:15], s[4:5], 0x50
	s_waitcnt lgkmcnt(0)
	s_ashr_i32 s7, s6, 31
	s_lshl_b64 s[0:1], s[6:7], 2
	s_add_u32 s0, s16, s0
	s_addc_u32 s1, s17, s1
	s_load_dwordx2 s[2:3], s[0:1], 0x0
	s_lshl_b32 s36, s26, 4
	s_not_b32 s0, s12
	v_or_b32_e32 v1, s36, v7
	v_cmp_gt_i32_e32 vcc, s25, v1
	s_waitcnt lgkmcnt(0)
	s_sub_i32 s15, s2, s12
	s_add_i32 s4, s3, s0
	s_cmp_lt_i32 s4, s15
	s_mul_i32 s7, s6, s34
	v_cmp_eq_u32_e64 s[0:1], 0, v0
	s_cbranch_scc1 .LBB20_20
; %bb.1:
	s_mul_i32 s5, s34, s4
	v_add_u32_e32 v2, s5, v8
	v_mul_lo_u32 v9, s34, v2
	v_cmp_gt_i32_e64 s[2:3], s34, v8
	s_cmp_lg_u32 s14, 0
	s_cselect_b64 s[16:17], -1, 0
	s_and_b64 s[2:3], vcc, s[2:3]
	s_mul_i32 s37, s35, s34
	s_mul_i32 s38, s34, s34
	s_lshl_b32 s39, s34, 4
	v_mov_b32_e32 v10, 0
	s_branch .LBB20_3
.LBB20_2:                               ;   in Loop: Header=BB20_3 Depth=1
                                        ; implicit-def: $vgpr9
	s_and_b64 vcc, exec, s[26:27]
	s_cbranch_vccnz .LBB20_21
.LBB20_3:                               ; =>This Loop Header: Depth=1
                                        ;     Child Loop BB20_18 Depth 2
                                        ;       Child Loop BB20_19 Depth 3
                                        ;     Child Loop BB20_9 Depth 2
                                        ;       Child Loop BB20_11 Depth 3
	s_ashr_i32 s5, s4, 31
	s_lshl_b64 s[26:27], s[4:5], 2
	s_add_u32 s26, s18, s26
	s_addc_u32 s27, s19, s27
	global_load_dword v2, v10, s[26:27]
	s_mov_b64 s[26:27], -1
	s_waitcnt vmcnt(0)
	v_readfirstlane_b32 s5, v2
	s_sub_i32 s5, s5, s12
	s_cmp_le_i32 s5, s6
	s_cbranch_scc1 .LBB20_2
; %bb.4:                                ;   in Loop: Header=BB20_3 Depth=1
	s_and_saveexec_b64 s[26:27], s[0:1]
	s_cbranch_execz .LBB20_6
; %bb.5:                                ;   in Loop: Header=BB20_3 Depth=1
	s_add_i32 s28, s5, s33
	s_ashr_i32 s29, s28, 31
	s_lshl_b64 s[28:29], s[28:29], 2
	s_add_u32 s28, s8, s28
	s_addc_u32 s29, s9, s29
	global_load_dword v2, v10, s[28:29] glc
	s_waitcnt vmcnt(0)
	v_cmp_ne_u32_e32 vcc, 0, v2
	s_cbranch_vccz .LBB20_16
.LBB20_6:                               ;   in Loop: Header=BB20_3 Depth=1
	s_or_b64 exec, exec, s[26:27]
	buffer_wbinvl1_vol
	s_barrier
	s_and_saveexec_b64 s[26:27], s[2:3]
	s_cbranch_execz .LBB20_15
; %bb.7:                                ;   in Loop: Header=BB20_3 Depth=1
	s_mul_i32 s28, s37, s5
	s_mul_i32 s40, s4, s34
	v_add_u32_e32 v11, s28, v1
	s_mov_b64 s[28:29], 0
	v_mov_b32_e32 v12, v9
	v_mov_b32_e32 v13, v8
	s_branch .LBB20_9
.LBB20_8:                               ;   in Loop: Header=BB20_9 Depth=2
	v_add_u32_e32 v4, s7, v13
	v_mad_u64_u32 v[4:5], s[30:31], v4, s35, v[1:2]
	v_mov_b32_e32 v6, s23
	v_add_u32_e32 v13, 16, v13
	v_ashrrev_i32_e32 v5, 31, v4
	v_lshlrev_b64 v[4:5], 3, v[4:5]
	v_add_u32_e32 v12, s39, v12
	v_add_co_u32_e32 v4, vcc, s22, v4
	v_addc_co_u32_e32 v5, vcc, v6, v5, vcc
	global_load_dwordx2 v[14:15], v[4:5], off
	v_cmp_le_i32_e32 vcc, s34, v13
	s_or_b64 s[28:29], vcc, s[28:29]
	s_waitcnt vmcnt(0)
	v_add_f64 v[2:3], v[14:15], -v[2:3]
	global_store_dwordx2 v[4:5], v[2:3], off
	s_andn2_b64 exec, exec, s[28:29]
	s_cbranch_execz .LBB20_15
.LBB20_9:                               ;   Parent Loop BB20_3 Depth=1
                                        ; =>  This Loop Header: Depth=2
                                        ;       Child Loop BB20_11 Depth 3
	v_mov_b32_e32 v2, 0
	v_mov_b32_e32 v3, 0
	s_mov_b32 s41, 0
	v_mov_b32_e32 v4, v11
	s_branch .LBB20_11
.LBB20_10:                              ;   in Loop: Header=BB20_11 Depth=3
	v_ashrrev_i32_e32 v6, 31, v5
	v_lshlrev_b64 v[5:6], 3, v[5:6]
	v_mov_b32_e32 v14, s11
	v_add_co_u32_e32 v5, vcc, s10, v5
	v_addc_co_u32_e32 v6, vcc, v14, v6, vcc
	global_load_dwordx2 v[14:15], v[5:6], off
	v_ashrrev_i32_e32 v5, 31, v4
	v_lshlrev_b64 v[5:6], 3, v[4:5]
	v_mov_b32_e32 v16, s23
	v_add_co_u32_e32 v5, vcc, s22, v5
	v_addc_co_u32_e32 v6, vcc, v16, v6, vcc
	global_load_dwordx2 v[5:6], v[5:6], off
	s_add_i32 s41, s41, 1
	s_cmp_eq_u32 s34, s41
	v_add_u32_e32 v4, s35, v4
	s_waitcnt vmcnt(0)
	v_fma_f64 v[2:3], v[14:15], v[5:6], v[2:3]
	s_cbranch_scc1 .LBB20_8
.LBB20_11:                              ;   Parent Loop BB20_3 Depth=1
                                        ;     Parent Loop BB20_9 Depth=2
                                        ; =>    This Inner Loop Header: Depth=3
	s_and_b64 vcc, exec, s[16:17]
	s_cbranch_vccz .LBB20_13
; %bb.12:                               ;   in Loop: Header=BB20_11 Depth=3
	s_add_i32 s30, s41, s40
	s_mul_i32 s30, s30, s34
	v_add_u32_e32 v5, s30, v13
	s_cbranch_execnz .LBB20_10
	s_branch .LBB20_14
.LBB20_13:                              ;   in Loop: Header=BB20_11 Depth=3
                                        ; implicit-def: $vgpr5
.LBB20_14:                              ;   in Loop: Header=BB20_11 Depth=3
	v_add_u32_e32 v5, s41, v12
	s_branch .LBB20_10
.LBB20_15:                              ;   in Loop: Header=BB20_3 Depth=1
	s_or_b64 exec, exec, s[26:27]
	s_add_i32 s28, s4, -1
	s_cmp_le_i32 s4, s15
	v_subrev_u32_e32 v9, s38, v9
	s_cselect_b64 s[26:27], -1, 0
	s_mov_b32 s4, s28
	s_and_b64 vcc, exec, s[26:27]
	s_cbranch_vccz .LBB20_3
	s_branch .LBB20_21
.LBB20_16:                              ;   in Loop: Header=BB20_3 Depth=1
	s_mov_b32 s30, 0
	s_branch .LBB20_18
.LBB20_17:                              ;   in Loop: Header=BB20_18 Depth=2
	global_load_dword v2, v10, s[28:29] glc
	s_cmpk_lt_u32 s30, 0xf43
	s_cselect_b64 s[40:41], -1, 0
	s_cmp_lg_u64 s[40:41], 0
	s_addc_u32 s30, s30, 0
	s_waitcnt vmcnt(0)
	v_cmp_ne_u32_e32 vcc, 0, v2
	s_cbranch_vccnz .LBB20_6
.LBB20_18:                              ;   Parent Loop BB20_3 Depth=1
                                        ; =>  This Loop Header: Depth=2
                                        ;       Child Loop BB20_19 Depth 3
	s_cmp_eq_u32 s30, 0
	s_mov_b32 s31, s30
	s_cbranch_scc1 .LBB20_17
.LBB20_19:                              ;   Parent Loop BB20_3 Depth=1
                                        ;     Parent Loop BB20_18 Depth=2
                                        ; =>    This Inner Loop Header: Depth=3
	s_add_i32 s31, s31, -1
	s_cmp_eq_u32 s31, 0
	s_sleep 1
	s_cbranch_scc0 .LBB20_19
	s_branch .LBB20_17
.LBB20_20:
	s_mov_b32 s5, s24
.LBB20_21:
	s_cmp_lt_i32 s6, s24
	s_cselect_b64 s[2:3], -1, 0
	s_cmp_eq_u32 s6, s5
	s_cselect_b64 s[0:1], -1, 0
	v_cmp_gt_i32_e32 vcc, s25, v1
	s_and_b64 s[0:1], vcc, s[0:1]
	s_cmp_gt_i32 s34, 0
	s_cselect_b64 s[16:17], -1, 0
	s_and_b64 s[0:1], s[0:1], s[16:17]
	s_and_b64 s[18:19], s[0:1], s[2:3]
	s_mov_b64 s[0:1], 0
	s_and_saveexec_b64 s[16:17], s[18:19]
	s_cbranch_execz .LBB20_38
; %bb.22:
	v_add_u32_e32 v2, s7, v8
	s_cmp_eq_u32 s13, 0
	v_mul_lo_u32 v2, s35, v2
	s_cselect_b64 s[0:1], -1, 0
	s_cmp_lg_u32 s14, 0
	s_cselect_b64 s[14:15], -1, 0
	s_mul_i32 s13, s4, s34
	s_add_i32 s4, s4, 1
	s_mul_i32 s4, s34, s4
	v_add3_u32 v9, v7, v2, s36
	s_add_i32 s4, s4, -1
	v_cndmask_b32_e64 v2, 0, 1, s[0:1]
	s_lshl_b32 s28, s35, 4
	s_mul_i32 s29, s34, s4
	s_mov_b64 s[4:5], 0
	v_cmp_ne_u32_e64 s[0:1], 1, v2
	v_mov_b32_e32 v10, 0
	v_mov_b32_e32 v11, s23
	s_mov_b32 s30, s34
.LBB20_23:                              ; =>This Loop Header: Depth=1
                                        ;     Child Loop BB20_30 Depth 2
	v_mov_b32_e32 v4, 0
	v_mov_b32_e32 v5, 0x3ff00000
	s_and_b64 vcc, exec, s[0:1]
	s_add_i32 s31, s30, -1
	s_cbranch_vccnz .LBB20_25
; %bb.24:                               ;   in Loop: Header=BB20_23 Depth=1
	s_add_i32 s18, s31, s13
	s_mul_i32 s18, s18, s34
	s_add_i32 s18, s18, s31
	s_ashr_i32 s19, s18, 31
	s_lshl_b64 s[18:19], s[18:19], 3
	s_add_u32 s18, s10, s18
	s_addc_u32 s19, s11, s19
	global_load_dwordx2 v[4:5], v10, s[18:19]
.LBB20_25:                              ;   in Loop: Header=BB20_23 Depth=1
	s_add_i32 s18, s31, s7
	s_mul_i32 s18, s18, s35
	s_waitcnt vmcnt(0)
	v_add_u32_e32 v2, s18, v1
	v_ashrrev_i32_e32 v3, 31, v2
	v_lshlrev_b64 v[2:3], 3, v[2:3]
	v_add_co_u32_e32 v6, vcc, s22, v2
	v_addc_co_u32_e32 v7, vcc, v11, v3, vcc
	global_load_dwordx2 v[2:3], v[6:7], off
	s_waitcnt vmcnt(1)
	v_cmp_eq_f64_e32 vcc, 0, v[4:5]
	s_cbranch_vccnz .LBB20_27
; %bb.26:                               ;   in Loop: Header=BB20_23 Depth=1
	s_waitcnt vmcnt(0)
	v_div_scale_f64 v[12:13], s[18:19], v[4:5], v[4:5], v[2:3]
	v_div_scale_f64 v[18:19], vcc, v[2:3], v[4:5], v[2:3]
	v_rcp_f64_e32 v[14:15], v[12:13]
	v_fma_f64 v[16:17], -v[12:13], v[14:15], 1.0
	v_fma_f64 v[14:15], v[14:15], v[16:17], v[14:15]
	v_fma_f64 v[16:17], -v[12:13], v[14:15], 1.0
	v_fma_f64 v[14:15], v[14:15], v[16:17], v[14:15]
	v_mul_f64 v[16:17], v[18:19], v[14:15]
	v_fma_f64 v[12:13], -v[12:13], v[16:17], v[18:19]
	v_div_fmas_f64 v[12:13], v[12:13], v[14:15], v[16:17]
	v_div_fixup_f64 v[2:3], v[12:13], v[4:5], v[2:3]
	global_store_dwordx2 v[6:7], v[2:3], off
	v_cmp_gt_i32_e32 vcc, s31, v8
	s_and_saveexec_b64 s[18:19], vcc
	s_cbranch_execnz .LBB20_28
	s_branch .LBB20_34
.LBB20_27:                              ;   in Loop: Header=BB20_23 Depth=1
	s_mov_b64 s[4:5], -1
	v_cmp_gt_i32_e32 vcc, s31, v8
	s_and_saveexec_b64 s[18:19], vcc
	s_cbranch_execz .LBB20_34
.LBB20_28:                              ;   in Loop: Header=BB20_23 Depth=1
	s_mov_b64 s[24:25], 0
	v_mov_b32_e32 v4, v9
	v_mov_b32_e32 v7, v8
	s_branch .LBB20_30
.LBB20_29:                              ;   in Loop: Header=BB20_30 Depth=2
	v_ashrrev_i32_e32 v6, 31, v5
	v_lshlrev_b64 v[5:6], 3, v[5:6]
	v_mov_b32_e32 v12, s11
	v_add_co_u32_e32 v5, vcc, s10, v5
	v_addc_co_u32_e32 v6, vcc, v12, v6, vcc
	global_load_dwordx2 v[12:13], v[5:6], off
	v_ashrrev_i32_e32 v5, 31, v4
	v_lshlrev_b64 v[5:6], 3, v[4:5]
	v_mov_b32_e32 v14, s23
	v_add_co_u32_e32 v5, vcc, s22, v5
	v_addc_co_u32_e32 v6, vcc, v14, v6, vcc
	global_load_dwordx2 v[14:15], v[5:6], off
	v_add_u32_e32 v7, 16, v7
	v_cmp_le_i32_e32 vcc, s31, v7
	s_or_b64 s[24:25], vcc, s[24:25]
	v_add_u32_e32 v4, s28, v4
	s_waitcnt vmcnt(0)
	v_fma_f64 v[12:13], -v[2:3], v[12:13], v[14:15]
	global_store_dwordx2 v[5:6], v[12:13], off
	s_andn2_b64 exec, exec, s[24:25]
	s_cbranch_execz .LBB20_34
.LBB20_30:                              ;   Parent Loop BB20_23 Depth=1
                                        ; =>  This Inner Loop Header: Depth=2
	s_and_b64 vcc, exec, s[14:15]
	s_cbranch_vccz .LBB20_32
; %bb.31:                               ;   in Loop: Header=BB20_30 Depth=2
	v_add_u32_e32 v5, s29, v7
	s_cbranch_execnz .LBB20_29
	s_branch .LBB20_33
.LBB20_32:                              ;   in Loop: Header=BB20_30 Depth=2
                                        ; implicit-def: $vgpr5
.LBB20_33:                              ;   in Loop: Header=BB20_30 Depth=2
	v_add_u32_e32 v5, s13, v7
	v_mul_lo_u32 v5, v5, s34
	v_add_u32_e32 v5, s31, v5
	s_branch .LBB20_29
.LBB20_34:                              ;   in Loop: Header=BB20_23 Depth=1
	s_or_b64 exec, exec, s[18:19]
; %bb.35:                               ;   in Loop: Header=BB20_23 Depth=1
	s_sub_i32 s29, s29, s34
	s_cmp_lt_i32 s30, 2
	s_cbranch_scc1 .LBB20_37
; %bb.36:                               ;   in Loop: Header=BB20_23 Depth=1
	s_mov_b32 s30, s31
	s_branch .LBB20_23
.LBB20_37:
	s_and_b64 s[0:1], s[4:5], exec
.LBB20_38:
	s_or_b64 exec, exec, s[16:17]
	v_cmp_eq_u32_e32 vcc, 0, v0
	s_and_b64 s[2:3], vcc, s[2:3]
	s_waitcnt vmcnt(0)
	buffer_wbinvl1_vol
	s_barrier
	s_and_saveexec_b64 s[4:5], s[2:3]
	s_cbranch_execz .LBB20_42
; %bb.39:
	s_add_i32 s2, s6, s33
	s_ashr_i32 s3, s2, 31
	s_lshl_b64 s[2:3], s[2:3], 2
	s_add_u32 s2, s8, s2
	s_addc_u32 s3, s9, s3
	v_mov_b32_e32 v0, 0
	v_mov_b32_e32 v1, 1
	global_store_dword v0, v1, s[2:3]
	s_and_b64 exec, exec, s[0:1]
	s_cbranch_execz .LBB20_42
; %bb.40:
	v_mbcnt_lo_u32_b32 v0, exec_lo, 0
	v_mbcnt_hi_u32_b32 v0, exec_hi, v0
	v_cmp_eq_u32_e32 vcc, 0, v0
	s_and_b64 exec, exec, vcc
	s_cbranch_execz .LBB20_42
; %bb.41:
	s_add_i32 s0, s6, s12
	v_mov_b32_e32 v0, 0
	v_mov_b32_e32 v1, s0
	global_atomic_smin v0, v1, s[20:21]
.LBB20_42:
	s_endpgm
	.section	.rodata,"a",@progbits
	.p2align	6, 0x0
	.amdhsa_kernel _ZN9rocsparseL24bsrsm_upper_large_kernelILj256ELj16ELb1EdEEviiPKiS2_PKT2_iPS3_iPiS2_S7_21rocsparse_index_base_20rocsparse_diag_type_20rocsparse_direction_
		.amdhsa_group_segment_fixed_size 0
		.amdhsa_private_segment_fixed_size 0
		.amdhsa_kernarg_size 92
		.amdhsa_user_sgpr_count 6
		.amdhsa_user_sgpr_private_segment_buffer 1
		.amdhsa_user_sgpr_dispatch_ptr 0
		.amdhsa_user_sgpr_queue_ptr 0
		.amdhsa_user_sgpr_kernarg_segment_ptr 1
		.amdhsa_user_sgpr_dispatch_id 0
		.amdhsa_user_sgpr_flat_scratch_init 0
		.amdhsa_user_sgpr_private_segment_size 0
		.amdhsa_uses_dynamic_stack 0
		.amdhsa_system_sgpr_private_segment_wavefront_offset 0
		.amdhsa_system_sgpr_workgroup_id_x 1
		.amdhsa_system_sgpr_workgroup_id_y 0
		.amdhsa_system_sgpr_workgroup_id_z 0
		.amdhsa_system_sgpr_workgroup_info 0
		.amdhsa_system_vgpr_workitem_id 0
		.amdhsa_next_free_vgpr 20
		.amdhsa_next_free_sgpr 42
		.amdhsa_reserve_vcc 1
		.amdhsa_reserve_flat_scratch 0
		.amdhsa_float_round_mode_32 0
		.amdhsa_float_round_mode_16_64 0
		.amdhsa_float_denorm_mode_32 3
		.amdhsa_float_denorm_mode_16_64 3
		.amdhsa_dx10_clamp 1
		.amdhsa_ieee_mode 1
		.amdhsa_fp16_overflow 0
		.amdhsa_exception_fp_ieee_invalid_op 0
		.amdhsa_exception_fp_denorm_src 0
		.amdhsa_exception_fp_ieee_div_zero 0
		.amdhsa_exception_fp_ieee_overflow 0
		.amdhsa_exception_fp_ieee_underflow 0
		.amdhsa_exception_fp_ieee_inexact 0
		.amdhsa_exception_int_div_zero 0
	.end_amdhsa_kernel
	.section	.text._ZN9rocsparseL24bsrsm_upper_large_kernelILj256ELj16ELb1EdEEviiPKiS2_PKT2_iPS3_iPiS2_S7_21rocsparse_index_base_20rocsparse_diag_type_20rocsparse_direction_,"axG",@progbits,_ZN9rocsparseL24bsrsm_upper_large_kernelILj256ELj16ELb1EdEEviiPKiS2_PKT2_iPS3_iPiS2_S7_21rocsparse_index_base_20rocsparse_diag_type_20rocsparse_direction_,comdat
.Lfunc_end20:
	.size	_ZN9rocsparseL24bsrsm_upper_large_kernelILj256ELj16ELb1EdEEviiPKiS2_PKT2_iPS3_iPiS2_S7_21rocsparse_index_base_20rocsparse_diag_type_20rocsparse_direction_, .Lfunc_end20-_ZN9rocsparseL24bsrsm_upper_large_kernelILj256ELj16ELb1EdEEviiPKiS2_PKT2_iPS3_iPiS2_S7_21rocsparse_index_base_20rocsparse_diag_type_20rocsparse_direction_
                                        ; -- End function
	.set _ZN9rocsparseL24bsrsm_upper_large_kernelILj256ELj16ELb1EdEEviiPKiS2_PKT2_iPS3_iPiS2_S7_21rocsparse_index_base_20rocsparse_diag_type_20rocsparse_direction_.num_vgpr, 20
	.set _ZN9rocsparseL24bsrsm_upper_large_kernelILj256ELj16ELb1EdEEviiPKiS2_PKT2_iPS3_iPiS2_S7_21rocsparse_index_base_20rocsparse_diag_type_20rocsparse_direction_.num_agpr, 0
	.set _ZN9rocsparseL24bsrsm_upper_large_kernelILj256ELj16ELb1EdEEviiPKiS2_PKT2_iPS3_iPiS2_S7_21rocsparse_index_base_20rocsparse_diag_type_20rocsparse_direction_.numbered_sgpr, 42
	.set _ZN9rocsparseL24bsrsm_upper_large_kernelILj256ELj16ELb1EdEEviiPKiS2_PKT2_iPS3_iPiS2_S7_21rocsparse_index_base_20rocsparse_diag_type_20rocsparse_direction_.num_named_barrier, 0
	.set _ZN9rocsparseL24bsrsm_upper_large_kernelILj256ELj16ELb1EdEEviiPKiS2_PKT2_iPS3_iPiS2_S7_21rocsparse_index_base_20rocsparse_diag_type_20rocsparse_direction_.private_seg_size, 0
	.set _ZN9rocsparseL24bsrsm_upper_large_kernelILj256ELj16ELb1EdEEviiPKiS2_PKT2_iPS3_iPiS2_S7_21rocsparse_index_base_20rocsparse_diag_type_20rocsparse_direction_.uses_vcc, 1
	.set _ZN9rocsparseL24bsrsm_upper_large_kernelILj256ELj16ELb1EdEEviiPKiS2_PKT2_iPS3_iPiS2_S7_21rocsparse_index_base_20rocsparse_diag_type_20rocsparse_direction_.uses_flat_scratch, 0
	.set _ZN9rocsparseL24bsrsm_upper_large_kernelILj256ELj16ELb1EdEEviiPKiS2_PKT2_iPS3_iPiS2_S7_21rocsparse_index_base_20rocsparse_diag_type_20rocsparse_direction_.has_dyn_sized_stack, 0
	.set _ZN9rocsparseL24bsrsm_upper_large_kernelILj256ELj16ELb1EdEEviiPKiS2_PKT2_iPS3_iPiS2_S7_21rocsparse_index_base_20rocsparse_diag_type_20rocsparse_direction_.has_recursion, 0
	.set _ZN9rocsparseL24bsrsm_upper_large_kernelILj256ELj16ELb1EdEEviiPKiS2_PKT2_iPS3_iPiS2_S7_21rocsparse_index_base_20rocsparse_diag_type_20rocsparse_direction_.has_indirect_call, 0
	.section	.AMDGPU.csdata,"",@progbits
; Kernel info:
; codeLenInByte = 1552
; TotalNumSgprs: 46
; NumVgprs: 20
; ScratchSize: 0
; MemoryBound: 0
; FloatMode: 240
; IeeeMode: 1
; LDSByteSize: 0 bytes/workgroup (compile time only)
; SGPRBlocks: 5
; VGPRBlocks: 4
; NumSGPRsForWavesPerEU: 46
; NumVGPRsForWavesPerEU: 20
; Occupancy: 10
; WaveLimiterHint : 1
; COMPUTE_PGM_RSRC2:SCRATCH_EN: 0
; COMPUTE_PGM_RSRC2:USER_SGPR: 6
; COMPUTE_PGM_RSRC2:TRAP_HANDLER: 0
; COMPUTE_PGM_RSRC2:TGID_X_EN: 1
; COMPUTE_PGM_RSRC2:TGID_Y_EN: 0
; COMPUTE_PGM_RSRC2:TGID_Z_EN: 0
; COMPUTE_PGM_RSRC2:TIDIG_COMP_CNT: 0
	.section	.text._ZN9rocsparseL24bsrsm_lower_large_kernelILj256ELj16ELb1EdEEviiPKiS2_PKT2_iPS3_iPiS2_S7_21rocsparse_index_base_20rocsparse_diag_type_20rocsparse_direction_,"axG",@progbits,_ZN9rocsparseL24bsrsm_lower_large_kernelILj256ELj16ELb1EdEEviiPKiS2_PKT2_iPS3_iPiS2_S7_21rocsparse_index_base_20rocsparse_diag_type_20rocsparse_direction_,comdat
	.globl	_ZN9rocsparseL24bsrsm_lower_large_kernelILj256ELj16ELb1EdEEviiPKiS2_PKT2_iPS3_iPiS2_S7_21rocsparse_index_base_20rocsparse_diag_type_20rocsparse_direction_ ; -- Begin function _ZN9rocsparseL24bsrsm_lower_large_kernelILj256ELj16ELb1EdEEviiPKiS2_PKT2_iPS3_iPiS2_S7_21rocsparse_index_base_20rocsparse_diag_type_20rocsparse_direction_
	.p2align	8
	.type	_ZN9rocsparseL24bsrsm_lower_large_kernelILj256ELj16ELb1EdEEviiPKiS2_PKT2_iPS3_iPiS2_S7_21rocsparse_index_base_20rocsparse_diag_type_20rocsparse_direction_,@function
_ZN9rocsparseL24bsrsm_lower_large_kernelILj256ELj16ELb1EdEEviiPKiS2_PKT2_iPS3_iPiS2_S7_21rocsparse_index_base_20rocsparse_diag_type_20rocsparse_direction_: ; @_ZN9rocsparseL24bsrsm_lower_large_kernelILj256ELj16ELb1EdEEviiPKiS2_PKT2_iPS3_iPiS2_S7_21rocsparse_index_base_20rocsparse_diag_type_20rocsparse_direction_
; %bb.0:
	s_load_dwordx2 s[24:25], s[4:5], 0x0
	s_load_dwordx4 s[16:19], s[4:5], 0x8
	s_load_dwordx4 s[8:11], s[4:5], 0x38
	s_load_dwordx2 s[20:21], s[4:5], 0x48
	v_lshrrev_b32_e32 v8, 4, v0
	v_and_b32_e32 v7, 15, v0
	s_waitcnt lgkmcnt(0)
	v_cvt_f32_u32_e32 v1, s24
	s_sub_i32 s0, 0, s24
	v_rcp_iflag_f32_e32 v1, v1
	v_mul_f32_e32 v1, 0x4f7ffffe, v1
	v_cvt_u32_f32_e32 v1, v1
	v_readfirstlane_b32 s1, v1
	s_mul_i32 s0, s0, s1
	s_mul_hi_u32 s0, s1, s0
	s_add_i32 s1, s1, s0
	s_mul_hi_u32 s0, s6, s1
	s_mul_i32 s1, s0, s24
	s_sub_i32 s1, s6, s1
	s_add_i32 s2, s0, 1
	s_sub_i32 s3, s1, s24
	s_cmp_ge_u32 s1, s24
	s_cselect_b32 s0, s2, s0
	s_cselect_b32 s1, s3, s1
	s_add_i32 s2, s0, 1
	s_cmp_ge_u32 s1, s24
	s_cselect_b32 s26, s2, s0
	s_mul_i32 s33, s26, s24
	s_sub_i32 s0, s6, s33
	s_ashr_i32 s1, s0, 31
	s_lshl_b64 s[0:1], s[0:1], 2
	s_add_u32 s0, s10, s0
	s_addc_u32 s1, s11, s1
	s_load_dword s6, s[0:1], 0x0
	s_load_dwordx2 s[10:11], s[4:5], 0x18
	s_load_dword s34, s[4:5], 0x20
	s_load_dwordx2 s[22:23], s[4:5], 0x28
	s_load_dword s35, s[4:5], 0x30
	s_load_dwordx4 s[12:15], s[4:5], 0x50
	s_waitcnt lgkmcnt(0)
	s_ashr_i32 s7, s6, 31
	s_lshl_b64 s[0:1], s[6:7], 2
	s_add_u32 s0, s16, s0
	s_addc_u32 s1, s17, s1
	s_load_dwordx2 s[2:3], s[0:1], 0x0
	s_lshl_b32 s36, s26, 4
	v_or_b32_e32 v1, s36, v8
	s_mul_i32 s7, s6, s34
	v_cmp_gt_i32_e32 vcc, s25, v1
	s_waitcnt lgkmcnt(0)
	s_sub_i32 s4, s2, s12
	s_cmp_ge_i32 s2, s3
	s_mul_i32 s37, s34, s34
	v_cmp_eq_u32_e64 s[0:1], 0, v0
	s_cbranch_scc1 .LBB21_20
; %bb.1:
	s_mul_i32 s5, s34, s4
	v_add_u32_e32 v2, s5, v7
	v_mul_lo_u32 v9, s34, v2
	s_sub_i32 s15, s3, s12
	v_cmp_gt_i32_e64 s[2:3], s34, v7
	s_cmp_lg_u32 s14, 0
	s_cselect_b64 s[16:17], -1, 0
	s_and_b64 s[2:3], vcc, s[2:3]
	s_mul_i32 s38, s35, s34
	s_lshl_b32 s39, s34, 4
	v_mov_b32_e32 v10, 0
	s_branch .LBB21_3
.LBB21_2:                               ;   in Loop: Header=BB21_3 Depth=1
                                        ; implicit-def: $vgpr9
	s_and_b64 vcc, exec, s[26:27]
	s_cbranch_vccnz .LBB21_21
.LBB21_3:                               ; =>This Loop Header: Depth=1
                                        ;     Child Loop BB21_18 Depth 2
                                        ;       Child Loop BB21_19 Depth 3
                                        ;     Child Loop BB21_9 Depth 2
                                        ;       Child Loop BB21_11 Depth 3
	s_ashr_i32 s5, s4, 31
	s_lshl_b64 s[26:27], s[4:5], 2
	s_add_u32 s26, s18, s26
	s_addc_u32 s27, s19, s27
	global_load_dword v2, v10, s[26:27]
	s_mov_b64 s[26:27], -1
	s_waitcnt vmcnt(0)
	v_readfirstlane_b32 s5, v2
	s_sub_i32 s5, s5, s12
	s_cmp_ge_i32 s5, s6
	s_cbranch_scc1 .LBB21_2
; %bb.4:                                ;   in Loop: Header=BB21_3 Depth=1
	s_and_saveexec_b64 s[26:27], s[0:1]
	s_cbranch_execz .LBB21_6
; %bb.5:                                ;   in Loop: Header=BB21_3 Depth=1
	s_add_i32 s28, s5, s33
	s_ashr_i32 s29, s28, 31
	s_lshl_b64 s[28:29], s[28:29], 2
	s_add_u32 s28, s8, s28
	s_addc_u32 s29, s9, s29
	global_load_dword v2, v10, s[28:29] glc
	s_waitcnt vmcnt(0)
	v_cmp_ne_u32_e32 vcc, 0, v2
	s_cbranch_vccz .LBB21_16
.LBB21_6:                               ;   in Loop: Header=BB21_3 Depth=1
	s_or_b64 exec, exec, s[26:27]
	buffer_wbinvl1_vol
	s_barrier
	s_and_saveexec_b64 s[26:27], s[2:3]
	s_cbranch_execz .LBB21_15
; %bb.7:                                ;   in Loop: Header=BB21_3 Depth=1
	s_mul_i32 s28, s38, s5
	s_mul_i32 s40, s4, s34
	v_add_u32_e32 v11, s28, v1
	s_mov_b64 s[28:29], 0
	v_mov_b32_e32 v12, v9
	v_mov_b32_e32 v13, v7
	s_branch .LBB21_9
.LBB21_8:                               ;   in Loop: Header=BB21_9 Depth=2
	v_add_u32_e32 v4, s7, v13
	v_mad_u64_u32 v[4:5], s[30:31], v4, s35, v[1:2]
	v_mov_b32_e32 v6, s23
	v_add_u32_e32 v13, 16, v13
	v_ashrrev_i32_e32 v5, 31, v4
	v_lshlrev_b64 v[4:5], 3, v[4:5]
	v_add_u32_e32 v12, s39, v12
	v_add_co_u32_e32 v4, vcc, s22, v4
	v_addc_co_u32_e32 v5, vcc, v6, v5, vcc
	global_load_dwordx2 v[14:15], v[4:5], off
	v_cmp_le_i32_e32 vcc, s34, v13
	s_or_b64 s[28:29], vcc, s[28:29]
	s_waitcnt vmcnt(0)
	v_add_f64 v[2:3], v[14:15], -v[2:3]
	global_store_dwordx2 v[4:5], v[2:3], off
	s_andn2_b64 exec, exec, s[28:29]
	s_cbranch_execz .LBB21_15
.LBB21_9:                               ;   Parent Loop BB21_3 Depth=1
                                        ; =>  This Loop Header: Depth=2
                                        ;       Child Loop BB21_11 Depth 3
	v_mov_b32_e32 v2, 0
	v_mov_b32_e32 v3, 0
	s_mov_b32 s41, 0
	v_mov_b32_e32 v4, v11
	s_branch .LBB21_11
.LBB21_10:                              ;   in Loop: Header=BB21_11 Depth=3
	v_ashrrev_i32_e32 v6, 31, v5
	v_lshlrev_b64 v[5:6], 3, v[5:6]
	v_mov_b32_e32 v14, s11
	v_add_co_u32_e32 v5, vcc, s10, v5
	v_addc_co_u32_e32 v6, vcc, v14, v6, vcc
	global_load_dwordx2 v[14:15], v[5:6], off
	v_ashrrev_i32_e32 v5, 31, v4
	v_lshlrev_b64 v[5:6], 3, v[4:5]
	v_mov_b32_e32 v16, s23
	v_add_co_u32_e32 v5, vcc, s22, v5
	v_addc_co_u32_e32 v6, vcc, v16, v6, vcc
	global_load_dwordx2 v[5:6], v[5:6], off
	s_add_i32 s41, s41, 1
	s_cmp_eq_u32 s34, s41
	v_add_u32_e32 v4, s35, v4
	s_waitcnt vmcnt(0)
	v_fma_f64 v[2:3], v[14:15], v[5:6], v[2:3]
	s_cbranch_scc1 .LBB21_8
.LBB21_11:                              ;   Parent Loop BB21_3 Depth=1
                                        ;     Parent Loop BB21_9 Depth=2
                                        ; =>    This Inner Loop Header: Depth=3
	s_and_b64 vcc, exec, s[16:17]
	s_cbranch_vccz .LBB21_13
; %bb.12:                               ;   in Loop: Header=BB21_11 Depth=3
	s_add_i32 s30, s41, s40
	s_mul_i32 s30, s30, s34
	v_add_u32_e32 v5, s30, v13
	s_cbranch_execnz .LBB21_10
	s_branch .LBB21_14
.LBB21_13:                              ;   in Loop: Header=BB21_11 Depth=3
                                        ; implicit-def: $vgpr5
.LBB21_14:                              ;   in Loop: Header=BB21_11 Depth=3
	v_add_u32_e32 v5, s41, v12
	s_branch .LBB21_10
.LBB21_15:                              ;   in Loop: Header=BB21_3 Depth=1
	s_or_b64 exec, exec, s[26:27]
	s_add_i32 s4, s4, 1
	s_cmp_ge_i32 s4, s15
	v_add_u32_e32 v9, s37, v9
	s_cselect_b64 s[26:27], -1, 0
	s_and_b64 vcc, exec, s[26:27]
	s_cbranch_vccz .LBB21_3
	s_branch .LBB21_21
.LBB21_16:                              ;   in Loop: Header=BB21_3 Depth=1
	s_mov_b32 s30, 0
	s_branch .LBB21_18
.LBB21_17:                              ;   in Loop: Header=BB21_18 Depth=2
	global_load_dword v2, v10, s[28:29] glc
	s_cmpk_lt_u32 s30, 0xf43
	s_cselect_b64 s[40:41], -1, 0
	s_cmp_lg_u64 s[40:41], 0
	s_addc_u32 s30, s30, 0
	s_waitcnt vmcnt(0)
	v_cmp_ne_u32_e32 vcc, 0, v2
	s_cbranch_vccnz .LBB21_6
.LBB21_18:                              ;   Parent Loop BB21_3 Depth=1
                                        ; =>  This Loop Header: Depth=2
                                        ;       Child Loop BB21_19 Depth 3
	s_cmp_eq_u32 s30, 0
	s_mov_b32 s31, s30
	s_cbranch_scc1 .LBB21_17
.LBB21_19:                              ;   Parent Loop BB21_3 Depth=1
                                        ;     Parent Loop BB21_18 Depth=2
                                        ; =>    This Inner Loop Header: Depth=3
	s_add_i32 s31, s31, -1
	s_cmp_eq_u32 s31, 0
	s_sleep 1
	s_cbranch_scc0 .LBB21_19
	s_branch .LBB21_17
.LBB21_20:
	s_mov_b32 s5, s24
.LBB21_21:
	s_cmp_lt_i32 s6, s24
	s_cselect_b64 s[2:3], -1, 0
	s_cmp_eq_u32 s6, s5
	s_cselect_b64 s[0:1], -1, 0
	v_cmp_gt_i32_e32 vcc, s25, v1
	s_and_b64 s[0:1], vcc, s[0:1]
	s_cmp_gt_i32 s34, 0
	s_cselect_b64 s[16:17], -1, 0
	s_and_b64 s[0:1], s[0:1], s[16:17]
	s_mov_b32 s28, 0
	s_and_b64 s[18:19], s[0:1], s[2:3]
	s_mov_b64 s[0:1], 0
	s_and_saveexec_b64 s[16:17], s[18:19]
	s_cbranch_execz .LBB21_36
; %bb.22:
	v_add_u32_e32 v2, s7, v7
	v_mul_lo_u32 v2, s35, v2
	s_cmp_eq_u32 s13, 0
	s_cselect_b64 s[0:1], -1, 0
	s_cmp_lg_u32 s14, 0
	v_add_u32_e32 v2, s35, v2
	v_add3_u32 v8, v8, v2, s36
	v_cndmask_b32_e64 v2, 0, 1, s[0:1]
	s_cselect_b64 s[14:15], -1, 0
	v_add_u32_e32 v9, 1, v7
	s_mul_i32 s13, s4, s34
	s_lshl_b32 s29, s35, 4
	s_mul_i32 s30, s4, s37
	s_add_i32 s31, s34, 1
	s_mov_b64 s[4:5], 0
	v_cmp_ne_u32_e64 s[0:1], 1, v2
	v_mov_b32_e32 v10, 0
	v_mov_b32_e32 v11, s23
	s_branch .LBB21_24
.LBB21_23:                              ;   in Loop: Header=BB21_24 Depth=1
	s_or_b64 exec, exec, s[18:19]
	s_add_i32 s28, s28, 1
	s_add_i32 s30, s30, s31
	s_cmp_eq_u32 s28, s34
	v_add_u32_e32 v8, s35, v8
	s_cbranch_scc1 .LBB21_35
.LBB21_24:                              ; =>This Loop Header: Depth=1
                                        ;     Child Loop BB21_31 Depth 2
	v_mov_b32_e32 v4, 0
	v_mov_b32_e32 v5, 0x3ff00000
	s_and_b64 vcc, exec, s[0:1]
	s_cbranch_vccnz .LBB21_26
; %bb.25:                               ;   in Loop: Header=BB21_24 Depth=1
	s_add_i32 s18, s28, s13
	s_mul_i32 s18, s18, s34
	s_add_i32 s18, s18, s28
	s_ashr_i32 s19, s18, 31
	s_lshl_b64 s[18:19], s[18:19], 3
	s_add_u32 s18, s10, s18
	s_addc_u32 s19, s11, s19
	global_load_dwordx2 v[4:5], v10, s[18:19]
.LBB21_26:                              ;   in Loop: Header=BB21_24 Depth=1
	s_add_i32 s18, s28, s7
	s_mul_i32 s18, s18, s35
	s_waitcnt vmcnt(0)
	v_add_u32_e32 v2, s18, v1
	v_ashrrev_i32_e32 v3, 31, v2
	v_lshlrev_b64 v[2:3], 3, v[2:3]
	v_add_co_u32_e32 v6, vcc, s22, v2
	v_addc_co_u32_e32 v7, vcc, v11, v3, vcc
	global_load_dwordx2 v[2:3], v[6:7], off
	s_waitcnt vmcnt(1)
	v_cmp_eq_f64_e32 vcc, 0, v[4:5]
	s_cbranch_vccnz .LBB21_28
; %bb.27:                               ;   in Loop: Header=BB21_24 Depth=1
	s_waitcnt vmcnt(0)
	v_div_scale_f64 v[12:13], s[18:19], v[4:5], v[4:5], v[2:3]
	v_div_scale_f64 v[18:19], vcc, v[2:3], v[4:5], v[2:3]
	v_rcp_f64_e32 v[14:15], v[12:13]
	v_fma_f64 v[16:17], -v[12:13], v[14:15], 1.0
	v_fma_f64 v[14:15], v[14:15], v[16:17], v[14:15]
	v_fma_f64 v[16:17], -v[12:13], v[14:15], 1.0
	v_fma_f64 v[14:15], v[14:15], v[16:17], v[14:15]
	v_mul_f64 v[16:17], v[18:19], v[14:15]
	v_fma_f64 v[12:13], -v[12:13], v[16:17], v[18:19]
	v_div_fmas_f64 v[12:13], v[12:13], v[14:15], v[16:17]
	v_div_fixup_f64 v[2:3], v[12:13], v[4:5], v[2:3]
	global_store_dwordx2 v[6:7], v[2:3], off
	v_add_u32_e32 v7, s28, v9
	v_cmp_gt_i32_e32 vcc, s34, v7
	s_and_saveexec_b64 s[18:19], vcc
	s_cbranch_execz .LBB21_23
	s_branch .LBB21_29
.LBB21_28:                              ;   in Loop: Header=BB21_24 Depth=1
	s_mov_b64 s[4:5], -1
	v_add_u32_e32 v7, s28, v9
	v_cmp_gt_i32_e32 vcc, s34, v7
	s_and_saveexec_b64 s[18:19], vcc
	s_cbranch_execz .LBB21_23
.LBB21_29:                              ;   in Loop: Header=BB21_24 Depth=1
	s_mov_b64 s[24:25], 0
	v_mov_b32_e32 v4, v8
	v_mov_b32_e32 v12, v9
	s_branch .LBB21_31
.LBB21_30:                              ;   in Loop: Header=BB21_31 Depth=2
	v_ashrrev_i32_e32 v6, 31, v5
	v_lshlrev_b64 v[5:6], 3, v[5:6]
	v_mov_b32_e32 v13, s11
	v_add_co_u32_e32 v5, vcc, s10, v5
	v_addc_co_u32_e32 v6, vcc, v13, v6, vcc
	global_load_dwordx2 v[13:14], v[5:6], off
	v_ashrrev_i32_e32 v5, 31, v4
	v_lshlrev_b64 v[5:6], 3, v[4:5]
	v_mov_b32_e32 v15, s23
	v_add_co_u32_e32 v5, vcc, s22, v5
	v_addc_co_u32_e32 v6, vcc, v15, v6, vcc
	global_load_dwordx2 v[15:16], v[5:6], off
	v_add_u32_e32 v12, 16, v12
	v_add_u32_e32 v7, 16, v7
	;; [unrolled: 1-line block ×3, first 2 shown]
	s_waitcnt vmcnt(0)
	v_fma_f64 v[13:14], -v[2:3], v[13:14], v[15:16]
	v_add_u32_e32 v15, s28, v12
	v_cmp_le_i32_e32 vcc, s34, v15
	s_or_b64 s[24:25], vcc, s[24:25]
	global_store_dwordx2 v[5:6], v[13:14], off
	s_andn2_b64 exec, exec, s[24:25]
	s_cbranch_execz .LBB21_23
.LBB21_31:                              ;   Parent Loop BB21_24 Depth=1
                                        ; =>  This Inner Loop Header: Depth=2
	s_and_b64 vcc, exec, s[14:15]
	s_cbranch_vccz .LBB21_33
; %bb.32:                               ;   in Loop: Header=BB21_31 Depth=2
	v_add_u32_e32 v5, s30, v12
	s_cbranch_execnz .LBB21_30
	s_branch .LBB21_34
.LBB21_33:                              ;   in Loop: Header=BB21_31 Depth=2
                                        ; implicit-def: $vgpr5
.LBB21_34:                              ;   in Loop: Header=BB21_31 Depth=2
	v_add_u32_e32 v5, s13, v7
	v_mul_lo_u32 v5, v5, s34
	v_add_u32_e32 v5, s28, v5
	s_branch .LBB21_30
.LBB21_35:
	s_and_b64 s[0:1], s[4:5], exec
.LBB21_36:
	s_or_b64 exec, exec, s[16:17]
	v_cmp_eq_u32_e32 vcc, 0, v0
	s_and_b64 s[2:3], vcc, s[2:3]
	s_waitcnt vmcnt(0)
	buffer_wbinvl1_vol
	s_barrier
	s_and_saveexec_b64 s[4:5], s[2:3]
	s_cbranch_execz .LBB21_40
; %bb.37:
	s_add_i32 s2, s6, s33
	s_ashr_i32 s3, s2, 31
	s_lshl_b64 s[2:3], s[2:3], 2
	s_add_u32 s2, s8, s2
	s_addc_u32 s3, s9, s3
	v_mov_b32_e32 v0, 0
	v_mov_b32_e32 v1, 1
	global_store_dword v0, v1, s[2:3]
	s_and_b64 exec, exec, s[0:1]
	s_cbranch_execz .LBB21_40
; %bb.38:
	v_mbcnt_lo_u32_b32 v0, exec_lo, 0
	v_mbcnt_hi_u32_b32 v0, exec_hi, v0
	v_cmp_eq_u32_e32 vcc, 0, v0
	s_and_b64 exec, exec, vcc
	s_cbranch_execz .LBB21_40
; %bb.39:
	s_add_i32 s0, s6, s12
	v_mov_b32_e32 v0, 0
	v_mov_b32_e32 v1, s0
	global_atomic_smin v0, v1, s[20:21]
.LBB21_40:
	s_endpgm
	.section	.rodata,"a",@progbits
	.p2align	6, 0x0
	.amdhsa_kernel _ZN9rocsparseL24bsrsm_lower_large_kernelILj256ELj16ELb1EdEEviiPKiS2_PKT2_iPS3_iPiS2_S7_21rocsparse_index_base_20rocsparse_diag_type_20rocsparse_direction_
		.amdhsa_group_segment_fixed_size 0
		.amdhsa_private_segment_fixed_size 0
		.amdhsa_kernarg_size 92
		.amdhsa_user_sgpr_count 6
		.amdhsa_user_sgpr_private_segment_buffer 1
		.amdhsa_user_sgpr_dispatch_ptr 0
		.amdhsa_user_sgpr_queue_ptr 0
		.amdhsa_user_sgpr_kernarg_segment_ptr 1
		.amdhsa_user_sgpr_dispatch_id 0
		.amdhsa_user_sgpr_flat_scratch_init 0
		.amdhsa_user_sgpr_private_segment_size 0
		.amdhsa_uses_dynamic_stack 0
		.amdhsa_system_sgpr_private_segment_wavefront_offset 0
		.amdhsa_system_sgpr_workgroup_id_x 1
		.amdhsa_system_sgpr_workgroup_id_y 0
		.amdhsa_system_sgpr_workgroup_id_z 0
		.amdhsa_system_sgpr_workgroup_info 0
		.amdhsa_system_vgpr_workitem_id 0
		.amdhsa_next_free_vgpr 20
		.amdhsa_next_free_sgpr 42
		.amdhsa_reserve_vcc 1
		.amdhsa_reserve_flat_scratch 0
		.amdhsa_float_round_mode_32 0
		.amdhsa_float_round_mode_16_64 0
		.amdhsa_float_denorm_mode_32 3
		.amdhsa_float_denorm_mode_16_64 3
		.amdhsa_dx10_clamp 1
		.amdhsa_ieee_mode 1
		.amdhsa_fp16_overflow 0
		.amdhsa_exception_fp_ieee_invalid_op 0
		.amdhsa_exception_fp_denorm_src 0
		.amdhsa_exception_fp_ieee_div_zero 0
		.amdhsa_exception_fp_ieee_overflow 0
		.amdhsa_exception_fp_ieee_underflow 0
		.amdhsa_exception_fp_ieee_inexact 0
		.amdhsa_exception_int_div_zero 0
	.end_amdhsa_kernel
	.section	.text._ZN9rocsparseL24bsrsm_lower_large_kernelILj256ELj16ELb1EdEEviiPKiS2_PKT2_iPS3_iPiS2_S7_21rocsparse_index_base_20rocsparse_diag_type_20rocsparse_direction_,"axG",@progbits,_ZN9rocsparseL24bsrsm_lower_large_kernelILj256ELj16ELb1EdEEviiPKiS2_PKT2_iPS3_iPiS2_S7_21rocsparse_index_base_20rocsparse_diag_type_20rocsparse_direction_,comdat
.Lfunc_end21:
	.size	_ZN9rocsparseL24bsrsm_lower_large_kernelILj256ELj16ELb1EdEEviiPKiS2_PKT2_iPS3_iPiS2_S7_21rocsparse_index_base_20rocsparse_diag_type_20rocsparse_direction_, .Lfunc_end21-_ZN9rocsparseL24bsrsm_lower_large_kernelILj256ELj16ELb1EdEEviiPKiS2_PKT2_iPS3_iPiS2_S7_21rocsparse_index_base_20rocsparse_diag_type_20rocsparse_direction_
                                        ; -- End function
	.set _ZN9rocsparseL24bsrsm_lower_large_kernelILj256ELj16ELb1EdEEviiPKiS2_PKT2_iPS3_iPiS2_S7_21rocsparse_index_base_20rocsparse_diag_type_20rocsparse_direction_.num_vgpr, 20
	.set _ZN9rocsparseL24bsrsm_lower_large_kernelILj256ELj16ELb1EdEEviiPKiS2_PKT2_iPS3_iPiS2_S7_21rocsparse_index_base_20rocsparse_diag_type_20rocsparse_direction_.num_agpr, 0
	.set _ZN9rocsparseL24bsrsm_lower_large_kernelILj256ELj16ELb1EdEEviiPKiS2_PKT2_iPS3_iPiS2_S7_21rocsparse_index_base_20rocsparse_diag_type_20rocsparse_direction_.numbered_sgpr, 42
	.set _ZN9rocsparseL24bsrsm_lower_large_kernelILj256ELj16ELb1EdEEviiPKiS2_PKT2_iPS3_iPiS2_S7_21rocsparse_index_base_20rocsparse_diag_type_20rocsparse_direction_.num_named_barrier, 0
	.set _ZN9rocsparseL24bsrsm_lower_large_kernelILj256ELj16ELb1EdEEviiPKiS2_PKT2_iPS3_iPiS2_S7_21rocsparse_index_base_20rocsparse_diag_type_20rocsparse_direction_.private_seg_size, 0
	.set _ZN9rocsparseL24bsrsm_lower_large_kernelILj256ELj16ELb1EdEEviiPKiS2_PKT2_iPS3_iPiS2_S7_21rocsparse_index_base_20rocsparse_diag_type_20rocsparse_direction_.uses_vcc, 1
	.set _ZN9rocsparseL24bsrsm_lower_large_kernelILj256ELj16ELb1EdEEviiPKiS2_PKT2_iPS3_iPiS2_S7_21rocsparse_index_base_20rocsparse_diag_type_20rocsparse_direction_.uses_flat_scratch, 0
	.set _ZN9rocsparseL24bsrsm_lower_large_kernelILj256ELj16ELb1EdEEviiPKiS2_PKT2_iPS3_iPiS2_S7_21rocsparse_index_base_20rocsparse_diag_type_20rocsparse_direction_.has_dyn_sized_stack, 0
	.set _ZN9rocsparseL24bsrsm_lower_large_kernelILj256ELj16ELb1EdEEviiPKiS2_PKT2_iPS3_iPiS2_S7_21rocsparse_index_base_20rocsparse_diag_type_20rocsparse_direction_.has_recursion, 0
	.set _ZN9rocsparseL24bsrsm_lower_large_kernelILj256ELj16ELb1EdEEviiPKiS2_PKT2_iPS3_iPiS2_S7_21rocsparse_index_base_20rocsparse_diag_type_20rocsparse_direction_.has_indirect_call, 0
	.section	.AMDGPU.csdata,"",@progbits
; Kernel info:
; codeLenInByte = 1560
; TotalNumSgprs: 46
; NumVgprs: 20
; ScratchSize: 0
; MemoryBound: 0
; FloatMode: 240
; IeeeMode: 1
; LDSByteSize: 0 bytes/workgroup (compile time only)
; SGPRBlocks: 5
; VGPRBlocks: 4
; NumSGPRsForWavesPerEU: 46
; NumVGPRsForWavesPerEU: 20
; Occupancy: 10
; WaveLimiterHint : 1
; COMPUTE_PGM_RSRC2:SCRATCH_EN: 0
; COMPUTE_PGM_RSRC2:USER_SGPR: 6
; COMPUTE_PGM_RSRC2:TRAP_HANDLER: 0
; COMPUTE_PGM_RSRC2:TGID_X_EN: 1
; COMPUTE_PGM_RSRC2:TGID_Y_EN: 0
; COMPUTE_PGM_RSRC2:TGID_Z_EN: 0
; COMPUTE_PGM_RSRC2:TIDIG_COMP_CNT: 0
	.section	.text._ZN9rocsparseL24bsrsm_upper_large_kernelILj64ELj16ELb0EdEEviiPKiS2_PKT2_iPS3_iPiS2_S7_21rocsparse_index_base_20rocsparse_diag_type_20rocsparse_direction_,"axG",@progbits,_ZN9rocsparseL24bsrsm_upper_large_kernelILj64ELj16ELb0EdEEviiPKiS2_PKT2_iPS3_iPiS2_S7_21rocsparse_index_base_20rocsparse_diag_type_20rocsparse_direction_,comdat
	.globl	_ZN9rocsparseL24bsrsm_upper_large_kernelILj64ELj16ELb0EdEEviiPKiS2_PKT2_iPS3_iPiS2_S7_21rocsparse_index_base_20rocsparse_diag_type_20rocsparse_direction_ ; -- Begin function _ZN9rocsparseL24bsrsm_upper_large_kernelILj64ELj16ELb0EdEEviiPKiS2_PKT2_iPS3_iPiS2_S7_21rocsparse_index_base_20rocsparse_diag_type_20rocsparse_direction_
	.p2align	8
	.type	_ZN9rocsparseL24bsrsm_upper_large_kernelILj64ELj16ELb0EdEEviiPKiS2_PKT2_iPS3_iPiS2_S7_21rocsparse_index_base_20rocsparse_diag_type_20rocsparse_direction_,@function
_ZN9rocsparseL24bsrsm_upper_large_kernelILj64ELj16ELb0EdEEviiPKiS2_PKT2_iPS3_iPiS2_S7_21rocsparse_index_base_20rocsparse_diag_type_20rocsparse_direction_: ; @_ZN9rocsparseL24bsrsm_upper_large_kernelILj64ELj16ELb0EdEEviiPKiS2_PKT2_iPS3_iPiS2_S7_21rocsparse_index_base_20rocsparse_diag_type_20rocsparse_direction_
; %bb.0:
	s_load_dwordx2 s[24:25], s[4:5], 0x0
	s_load_dwordx4 s[16:19], s[4:5], 0x8
	s_load_dwordx4 s[8:11], s[4:5], 0x38
	s_load_dwordx2 s[20:21], s[4:5], 0x48
	v_lshrrev_b32_e32 v7, 2, v0
	v_and_b32_e32 v8, 3, v0
	s_waitcnt lgkmcnt(0)
	v_cvt_f32_u32_e32 v1, s24
	s_sub_i32 s0, 0, s24
	v_rcp_iflag_f32_e32 v1, v1
	v_mul_f32_e32 v1, 0x4f7ffffe, v1
	v_cvt_u32_f32_e32 v1, v1
	v_readfirstlane_b32 s1, v1
	s_mul_i32 s0, s0, s1
	s_mul_hi_u32 s0, s1, s0
	s_add_i32 s1, s1, s0
	s_mul_hi_u32 s0, s6, s1
	s_mul_i32 s1, s0, s24
	s_sub_i32 s1, s6, s1
	s_add_i32 s2, s0, 1
	s_sub_i32 s3, s1, s24
	s_cmp_ge_u32 s1, s24
	s_cselect_b32 s0, s2, s0
	s_cselect_b32 s1, s3, s1
	s_add_i32 s2, s0, 1
	s_cmp_ge_u32 s1, s24
	s_cselect_b32 s26, s2, s0
	s_mul_i32 s33, s26, s24
	s_sub_i32 s0, s6, s33
	s_ashr_i32 s1, s0, 31
	s_lshl_b64 s[0:1], s[0:1], 2
	s_add_u32 s0, s10, s0
	s_addc_u32 s1, s11, s1
	s_load_dword s6, s[0:1], 0x0
	s_load_dwordx2 s[10:11], s[4:5], 0x18
	s_load_dword s34, s[4:5], 0x20
	s_load_dwordx2 s[22:23], s[4:5], 0x28
	s_load_dword s35, s[4:5], 0x30
	s_load_dwordx4 s[12:15], s[4:5], 0x50
	s_waitcnt lgkmcnt(0)
	s_ashr_i32 s7, s6, 31
	s_lshl_b64 s[0:1], s[6:7], 2
	s_add_u32 s0, s16, s0
	s_addc_u32 s1, s17, s1
	s_load_dwordx2 s[2:3], s[0:1], 0x0
	s_lshl_b32 s36, s26, 4
	s_not_b32 s0, s12
	v_or_b32_e32 v1, s36, v7
	v_cmp_gt_i32_e32 vcc, s25, v1
	s_waitcnt lgkmcnt(0)
	s_sub_i32 s15, s2, s12
	s_add_i32 s4, s3, s0
	s_cmp_lt_i32 s4, s15
	s_mul_i32 s7, s6, s34
	v_cmp_eq_u32_e64 s[0:1], 0, v0
	s_cbranch_scc1 .LBB22_17
; %bb.1:
	s_mul_i32 s5, s34, s4
	v_add_u32_e32 v2, s5, v8
	v_mul_lo_u32 v9, s34, v2
	v_cmp_gt_i32_e64 s[2:3], s34, v8
	s_cmp_lg_u32 s14, 0
	s_cselect_b64 s[16:17], -1, 0
	s_and_b64 s[2:3], vcc, s[2:3]
	s_mul_i32 s37, s35, s34
	s_mul_i32 s38, s34, s34
	s_lshl_b32 s39, s34, 2
	v_mov_b32_e32 v10, 0
	s_branch .LBB22_3
.LBB22_2:                               ;   in Loop: Header=BB22_3 Depth=1
                                        ; implicit-def: $vgpr9
	s_and_b64 vcc, exec, s[26:27]
	s_cbranch_vccnz .LBB22_18
.LBB22_3:                               ; =>This Loop Header: Depth=1
                                        ;     Child Loop BB22_6 Depth 2
                                        ;     Child Loop BB22_10 Depth 2
                                        ;       Child Loop BB22_12 Depth 3
	s_ashr_i32 s5, s4, 31
	s_lshl_b64 s[26:27], s[4:5], 2
	s_add_u32 s26, s18, s26
	s_addc_u32 s27, s19, s27
	global_load_dword v2, v10, s[26:27]
	s_mov_b64 s[26:27], -1
	s_waitcnt vmcnt(0)
	v_readfirstlane_b32 s5, v2
	s_sub_i32 s5, s5, s12
	s_cmp_le_i32 s5, s6
	s_cbranch_scc1 .LBB22_2
; %bb.4:                                ;   in Loop: Header=BB22_3 Depth=1
	s_and_saveexec_b64 s[26:27], s[0:1]
	s_cbranch_execz .LBB22_7
; %bb.5:                                ;   in Loop: Header=BB22_3 Depth=1
	s_add_i32 s28, s5, s33
	s_ashr_i32 s29, s28, 31
	s_lshl_b64 s[28:29], s[28:29], 2
	s_add_u32 s28, s8, s28
	s_addc_u32 s29, s9, s29
	global_load_dword v2, v10, s[28:29] glc
	s_waitcnt vmcnt(0)
	v_cmp_ne_u32_e32 vcc, 0, v2
	s_cbranch_vccnz .LBB22_7
.LBB22_6:                               ;   Parent Loop BB22_3 Depth=1
                                        ; =>  This Inner Loop Header: Depth=2
	global_load_dword v2, v10, s[28:29] glc
	s_waitcnt vmcnt(0)
	v_cmp_eq_u32_e32 vcc, 0, v2
	s_cbranch_vccnz .LBB22_6
.LBB22_7:                               ;   in Loop: Header=BB22_3 Depth=1
	s_or_b64 exec, exec, s[26:27]
	buffer_wbinvl1_vol
	; wave barrier
	s_and_saveexec_b64 s[26:27], s[2:3]
	s_cbranch_execz .LBB22_16
; %bb.8:                                ;   in Loop: Header=BB22_3 Depth=1
	s_mul_i32 s28, s37, s5
	s_mul_i32 s40, s4, s34
	v_add_u32_e32 v11, s28, v1
	s_mov_b64 s[28:29], 0
	v_mov_b32_e32 v12, v9
	v_mov_b32_e32 v13, v8
	s_branch .LBB22_10
.LBB22_9:                               ;   in Loop: Header=BB22_10 Depth=2
	v_add_u32_e32 v4, s7, v13
	v_mad_u64_u32 v[4:5], s[30:31], v4, s35, v[1:2]
	v_mov_b32_e32 v6, s23
	v_add_u32_e32 v13, 4, v13
	v_ashrrev_i32_e32 v5, 31, v4
	v_lshlrev_b64 v[4:5], 3, v[4:5]
	v_add_u32_e32 v12, s39, v12
	v_add_co_u32_e32 v4, vcc, s22, v4
	v_addc_co_u32_e32 v5, vcc, v6, v5, vcc
	global_load_dwordx2 v[14:15], v[4:5], off
	v_cmp_le_i32_e32 vcc, s34, v13
	s_or_b64 s[28:29], vcc, s[28:29]
	s_waitcnt vmcnt(0)
	v_add_f64 v[2:3], v[14:15], -v[2:3]
	global_store_dwordx2 v[4:5], v[2:3], off
	s_andn2_b64 exec, exec, s[28:29]
	s_cbranch_execz .LBB22_16
.LBB22_10:                              ;   Parent Loop BB22_3 Depth=1
                                        ; =>  This Loop Header: Depth=2
                                        ;       Child Loop BB22_12 Depth 3
	v_mov_b32_e32 v2, 0
	v_mov_b32_e32 v3, 0
	s_mov_b32 s41, 0
	v_mov_b32_e32 v4, v11
	s_branch .LBB22_12
.LBB22_11:                              ;   in Loop: Header=BB22_12 Depth=3
	v_ashrrev_i32_e32 v6, 31, v5
	v_lshlrev_b64 v[5:6], 3, v[5:6]
	v_mov_b32_e32 v14, s11
	v_add_co_u32_e32 v5, vcc, s10, v5
	v_addc_co_u32_e32 v6, vcc, v14, v6, vcc
	global_load_dwordx2 v[14:15], v[5:6], off
	v_ashrrev_i32_e32 v5, 31, v4
	v_lshlrev_b64 v[5:6], 3, v[4:5]
	v_mov_b32_e32 v16, s23
	v_add_co_u32_e32 v5, vcc, s22, v5
	v_addc_co_u32_e32 v6, vcc, v16, v6, vcc
	global_load_dwordx2 v[5:6], v[5:6], off
	s_add_i32 s41, s41, 1
	s_cmp_eq_u32 s34, s41
	v_add_u32_e32 v4, s35, v4
	s_waitcnt vmcnt(0)
	v_fma_f64 v[2:3], v[14:15], v[5:6], v[2:3]
	s_cbranch_scc1 .LBB22_9
.LBB22_12:                              ;   Parent Loop BB22_3 Depth=1
                                        ;     Parent Loop BB22_10 Depth=2
                                        ; =>    This Inner Loop Header: Depth=3
	s_and_b64 vcc, exec, s[16:17]
	s_cbranch_vccz .LBB22_14
; %bb.13:                               ;   in Loop: Header=BB22_12 Depth=3
	s_add_i32 s30, s41, s40
	s_mul_i32 s30, s30, s34
	v_add_u32_e32 v5, s30, v13
	s_cbranch_execnz .LBB22_11
	s_branch .LBB22_15
.LBB22_14:                              ;   in Loop: Header=BB22_12 Depth=3
                                        ; implicit-def: $vgpr5
.LBB22_15:                              ;   in Loop: Header=BB22_12 Depth=3
	v_add_u32_e32 v5, s41, v12
	s_branch .LBB22_11
.LBB22_16:                              ;   in Loop: Header=BB22_3 Depth=1
	s_or_b64 exec, exec, s[26:27]
	s_add_i32 s28, s4, -1
	s_cmp_le_i32 s4, s15
	v_subrev_u32_e32 v9, s38, v9
	s_cselect_b64 s[26:27], -1, 0
	s_mov_b32 s4, s28
	s_and_b64 vcc, exec, s[26:27]
	s_cbranch_vccz .LBB22_3
	s_branch .LBB22_18
.LBB22_17:
	s_mov_b32 s5, s24
.LBB22_18:
	s_cmp_lt_i32 s6, s24
	s_cselect_b64 s[2:3], -1, 0
	s_cmp_eq_u32 s6, s5
	s_cselect_b64 s[0:1], -1, 0
	v_cmp_gt_i32_e32 vcc, s25, v1
	s_and_b64 s[0:1], vcc, s[0:1]
	s_cmp_gt_i32 s34, 0
	s_cselect_b64 s[16:17], -1, 0
	s_and_b64 s[0:1], s[0:1], s[16:17]
	s_and_b64 s[18:19], s[0:1], s[2:3]
	s_mov_b64 s[0:1], 0
	s_and_saveexec_b64 s[16:17], s[18:19]
	s_cbranch_execz .LBB22_35
; %bb.19:
	v_add_u32_e32 v2, s7, v8
	s_cmp_eq_u32 s13, 0
	v_mul_lo_u32 v2, s35, v2
	s_cselect_b64 s[0:1], -1, 0
	s_cmp_lg_u32 s14, 0
	s_cselect_b64 s[14:15], -1, 0
	s_mul_i32 s13, s4, s34
	s_add_i32 s4, s4, 1
	s_mul_i32 s4, s34, s4
	v_add3_u32 v9, v7, v2, s36
	s_add_i32 s4, s4, -1
	v_cndmask_b32_e64 v2, 0, 1, s[0:1]
	s_lshl_b32 s28, s35, 2
	s_mul_i32 s29, s34, s4
	s_mov_b64 s[4:5], 0
	v_cmp_ne_u32_e64 s[0:1], 1, v2
	v_mov_b32_e32 v10, 0
	v_mov_b32_e32 v11, s23
	s_mov_b32 s30, s34
.LBB22_20:                              ; =>This Loop Header: Depth=1
                                        ;     Child Loop BB22_27 Depth 2
	v_mov_b32_e32 v4, 0
	v_mov_b32_e32 v5, 0x3ff00000
	s_and_b64 vcc, exec, s[0:1]
	s_add_i32 s31, s30, -1
	s_cbranch_vccnz .LBB22_22
; %bb.21:                               ;   in Loop: Header=BB22_20 Depth=1
	s_add_i32 s18, s31, s13
	s_mul_i32 s18, s18, s34
	s_add_i32 s18, s18, s31
	s_ashr_i32 s19, s18, 31
	s_lshl_b64 s[18:19], s[18:19], 3
	s_add_u32 s18, s10, s18
	s_addc_u32 s19, s11, s19
	global_load_dwordx2 v[4:5], v10, s[18:19]
.LBB22_22:                              ;   in Loop: Header=BB22_20 Depth=1
	s_add_i32 s18, s31, s7
	s_mul_i32 s18, s18, s35
	s_waitcnt vmcnt(0)
	v_add_u32_e32 v2, s18, v1
	v_ashrrev_i32_e32 v3, 31, v2
	v_lshlrev_b64 v[2:3], 3, v[2:3]
	v_add_co_u32_e32 v6, vcc, s22, v2
	v_addc_co_u32_e32 v7, vcc, v11, v3, vcc
	global_load_dwordx2 v[2:3], v[6:7], off
	s_waitcnt vmcnt(1)
	v_cmp_eq_f64_e32 vcc, 0, v[4:5]
	s_cbranch_vccnz .LBB22_24
; %bb.23:                               ;   in Loop: Header=BB22_20 Depth=1
	s_waitcnt vmcnt(0)
	v_div_scale_f64 v[12:13], s[18:19], v[4:5], v[4:5], v[2:3]
	v_div_scale_f64 v[18:19], vcc, v[2:3], v[4:5], v[2:3]
	v_rcp_f64_e32 v[14:15], v[12:13]
	v_fma_f64 v[16:17], -v[12:13], v[14:15], 1.0
	v_fma_f64 v[14:15], v[14:15], v[16:17], v[14:15]
	v_fma_f64 v[16:17], -v[12:13], v[14:15], 1.0
	v_fma_f64 v[14:15], v[14:15], v[16:17], v[14:15]
	v_mul_f64 v[16:17], v[18:19], v[14:15]
	v_fma_f64 v[12:13], -v[12:13], v[16:17], v[18:19]
	v_div_fmas_f64 v[12:13], v[12:13], v[14:15], v[16:17]
	v_div_fixup_f64 v[2:3], v[12:13], v[4:5], v[2:3]
	global_store_dwordx2 v[6:7], v[2:3], off
	v_cmp_gt_i32_e32 vcc, s31, v8
	s_and_saveexec_b64 s[18:19], vcc
	s_cbranch_execnz .LBB22_25
	s_branch .LBB22_31
.LBB22_24:                              ;   in Loop: Header=BB22_20 Depth=1
	s_mov_b64 s[4:5], -1
	v_cmp_gt_i32_e32 vcc, s31, v8
	s_and_saveexec_b64 s[18:19], vcc
	s_cbranch_execz .LBB22_31
.LBB22_25:                              ;   in Loop: Header=BB22_20 Depth=1
	s_mov_b64 s[24:25], 0
	v_mov_b32_e32 v4, v9
	v_mov_b32_e32 v7, v8
	s_branch .LBB22_27
.LBB22_26:                              ;   in Loop: Header=BB22_27 Depth=2
	v_ashrrev_i32_e32 v6, 31, v5
	v_lshlrev_b64 v[5:6], 3, v[5:6]
	v_mov_b32_e32 v12, s11
	v_add_co_u32_e32 v5, vcc, s10, v5
	v_addc_co_u32_e32 v6, vcc, v12, v6, vcc
	global_load_dwordx2 v[12:13], v[5:6], off
	v_ashrrev_i32_e32 v5, 31, v4
	v_lshlrev_b64 v[5:6], 3, v[4:5]
	v_mov_b32_e32 v14, s23
	v_add_co_u32_e32 v5, vcc, s22, v5
	v_addc_co_u32_e32 v6, vcc, v14, v6, vcc
	global_load_dwordx2 v[14:15], v[5:6], off
	v_add_u32_e32 v7, 4, v7
	v_cmp_le_i32_e32 vcc, s31, v7
	s_or_b64 s[24:25], vcc, s[24:25]
	v_add_u32_e32 v4, s28, v4
	s_waitcnt vmcnt(0)
	v_fma_f64 v[12:13], -v[2:3], v[12:13], v[14:15]
	global_store_dwordx2 v[5:6], v[12:13], off
	s_andn2_b64 exec, exec, s[24:25]
	s_cbranch_execz .LBB22_31
.LBB22_27:                              ;   Parent Loop BB22_20 Depth=1
                                        ; =>  This Inner Loop Header: Depth=2
	s_and_b64 vcc, exec, s[14:15]
	s_cbranch_vccz .LBB22_29
; %bb.28:                               ;   in Loop: Header=BB22_27 Depth=2
	v_add_u32_e32 v5, s29, v7
	s_cbranch_execnz .LBB22_26
	s_branch .LBB22_30
.LBB22_29:                              ;   in Loop: Header=BB22_27 Depth=2
                                        ; implicit-def: $vgpr5
.LBB22_30:                              ;   in Loop: Header=BB22_27 Depth=2
	v_add_u32_e32 v5, s13, v7
	v_mul_lo_u32 v5, v5, s34
	v_add_u32_e32 v5, s31, v5
	s_branch .LBB22_26
.LBB22_31:                              ;   in Loop: Header=BB22_20 Depth=1
	s_or_b64 exec, exec, s[18:19]
; %bb.32:                               ;   in Loop: Header=BB22_20 Depth=1
	s_sub_i32 s29, s29, s34
	s_cmp_lt_i32 s30, 2
	s_cbranch_scc1 .LBB22_34
; %bb.33:                               ;   in Loop: Header=BB22_20 Depth=1
	s_mov_b32 s30, s31
	s_branch .LBB22_20
.LBB22_34:
	s_and_b64 s[0:1], s[4:5], exec
.LBB22_35:
	s_or_b64 exec, exec, s[16:17]
	v_cmp_eq_u32_e32 vcc, 0, v0
	s_and_b64 s[2:3], vcc, s[2:3]
	s_waitcnt vmcnt(0)
	buffer_wbinvl1_vol
	; wave barrier
	s_and_saveexec_b64 s[4:5], s[2:3]
	s_cbranch_execz .LBB22_39
; %bb.36:
	s_add_i32 s2, s6, s33
	s_ashr_i32 s3, s2, 31
	s_lshl_b64 s[2:3], s[2:3], 2
	s_add_u32 s2, s8, s2
	s_addc_u32 s3, s9, s3
	v_mov_b32_e32 v0, 0
	v_mov_b32_e32 v1, 1
	global_store_dword v0, v1, s[2:3]
	s_and_b64 exec, exec, s[0:1]
	s_cbranch_execz .LBB22_39
; %bb.37:
	v_mbcnt_lo_u32_b32 v0, exec_lo, 0
	v_mbcnt_hi_u32_b32 v0, exec_hi, v0
	v_cmp_eq_u32_e32 vcc, 0, v0
	s_and_b64 exec, exec, vcc
	s_cbranch_execz .LBB22_39
; %bb.38:
	s_add_i32 s0, s6, s12
	v_mov_b32_e32 v0, 0
	v_mov_b32_e32 v1, s0
	global_atomic_smin v0, v1, s[20:21]
.LBB22_39:
	s_endpgm
	.section	.rodata,"a",@progbits
	.p2align	6, 0x0
	.amdhsa_kernel _ZN9rocsparseL24bsrsm_upper_large_kernelILj64ELj16ELb0EdEEviiPKiS2_PKT2_iPS3_iPiS2_S7_21rocsparse_index_base_20rocsparse_diag_type_20rocsparse_direction_
		.amdhsa_group_segment_fixed_size 0
		.amdhsa_private_segment_fixed_size 0
		.amdhsa_kernarg_size 92
		.amdhsa_user_sgpr_count 6
		.amdhsa_user_sgpr_private_segment_buffer 1
		.amdhsa_user_sgpr_dispatch_ptr 0
		.amdhsa_user_sgpr_queue_ptr 0
		.amdhsa_user_sgpr_kernarg_segment_ptr 1
		.amdhsa_user_sgpr_dispatch_id 0
		.amdhsa_user_sgpr_flat_scratch_init 0
		.amdhsa_user_sgpr_private_segment_size 0
		.amdhsa_uses_dynamic_stack 0
		.amdhsa_system_sgpr_private_segment_wavefront_offset 0
		.amdhsa_system_sgpr_workgroup_id_x 1
		.amdhsa_system_sgpr_workgroup_id_y 0
		.amdhsa_system_sgpr_workgroup_id_z 0
		.amdhsa_system_sgpr_workgroup_info 0
		.amdhsa_system_vgpr_workitem_id 0
		.amdhsa_next_free_vgpr 20
		.amdhsa_next_free_sgpr 42
		.amdhsa_reserve_vcc 1
		.amdhsa_reserve_flat_scratch 0
		.amdhsa_float_round_mode_32 0
		.amdhsa_float_round_mode_16_64 0
		.amdhsa_float_denorm_mode_32 3
		.amdhsa_float_denorm_mode_16_64 3
		.amdhsa_dx10_clamp 1
		.amdhsa_ieee_mode 1
		.amdhsa_fp16_overflow 0
		.amdhsa_exception_fp_ieee_invalid_op 0
		.amdhsa_exception_fp_denorm_src 0
		.amdhsa_exception_fp_ieee_div_zero 0
		.amdhsa_exception_fp_ieee_overflow 0
		.amdhsa_exception_fp_ieee_underflow 0
		.amdhsa_exception_fp_ieee_inexact 0
		.amdhsa_exception_int_div_zero 0
	.end_amdhsa_kernel
	.section	.text._ZN9rocsparseL24bsrsm_upper_large_kernelILj64ELj16ELb0EdEEviiPKiS2_PKT2_iPS3_iPiS2_S7_21rocsparse_index_base_20rocsparse_diag_type_20rocsparse_direction_,"axG",@progbits,_ZN9rocsparseL24bsrsm_upper_large_kernelILj64ELj16ELb0EdEEviiPKiS2_PKT2_iPS3_iPiS2_S7_21rocsparse_index_base_20rocsparse_diag_type_20rocsparse_direction_,comdat
.Lfunc_end22:
	.size	_ZN9rocsparseL24bsrsm_upper_large_kernelILj64ELj16ELb0EdEEviiPKiS2_PKT2_iPS3_iPiS2_S7_21rocsparse_index_base_20rocsparse_diag_type_20rocsparse_direction_, .Lfunc_end22-_ZN9rocsparseL24bsrsm_upper_large_kernelILj64ELj16ELb0EdEEviiPKiS2_PKT2_iPS3_iPiS2_S7_21rocsparse_index_base_20rocsparse_diag_type_20rocsparse_direction_
                                        ; -- End function
	.set _ZN9rocsparseL24bsrsm_upper_large_kernelILj64ELj16ELb0EdEEviiPKiS2_PKT2_iPS3_iPiS2_S7_21rocsparse_index_base_20rocsparse_diag_type_20rocsparse_direction_.num_vgpr, 20
	.set _ZN9rocsparseL24bsrsm_upper_large_kernelILj64ELj16ELb0EdEEviiPKiS2_PKT2_iPS3_iPiS2_S7_21rocsparse_index_base_20rocsparse_diag_type_20rocsparse_direction_.num_agpr, 0
	.set _ZN9rocsparseL24bsrsm_upper_large_kernelILj64ELj16ELb0EdEEviiPKiS2_PKT2_iPS3_iPiS2_S7_21rocsparse_index_base_20rocsparse_diag_type_20rocsparse_direction_.numbered_sgpr, 42
	.set _ZN9rocsparseL24bsrsm_upper_large_kernelILj64ELj16ELb0EdEEviiPKiS2_PKT2_iPS3_iPiS2_S7_21rocsparse_index_base_20rocsparse_diag_type_20rocsparse_direction_.num_named_barrier, 0
	.set _ZN9rocsparseL24bsrsm_upper_large_kernelILj64ELj16ELb0EdEEviiPKiS2_PKT2_iPS3_iPiS2_S7_21rocsparse_index_base_20rocsparse_diag_type_20rocsparse_direction_.private_seg_size, 0
	.set _ZN9rocsparseL24bsrsm_upper_large_kernelILj64ELj16ELb0EdEEviiPKiS2_PKT2_iPS3_iPiS2_S7_21rocsparse_index_base_20rocsparse_diag_type_20rocsparse_direction_.uses_vcc, 1
	.set _ZN9rocsparseL24bsrsm_upper_large_kernelILj64ELj16ELb0EdEEviiPKiS2_PKT2_iPS3_iPiS2_S7_21rocsparse_index_base_20rocsparse_diag_type_20rocsparse_direction_.uses_flat_scratch, 0
	.set _ZN9rocsparseL24bsrsm_upper_large_kernelILj64ELj16ELb0EdEEviiPKiS2_PKT2_iPS3_iPiS2_S7_21rocsparse_index_base_20rocsparse_diag_type_20rocsparse_direction_.has_dyn_sized_stack, 0
	.set _ZN9rocsparseL24bsrsm_upper_large_kernelILj64ELj16ELb0EdEEviiPKiS2_PKT2_iPS3_iPiS2_S7_21rocsparse_index_base_20rocsparse_diag_type_20rocsparse_direction_.has_recursion, 0
	.set _ZN9rocsparseL24bsrsm_upper_large_kernelILj64ELj16ELb0EdEEviiPKiS2_PKT2_iPS3_iPiS2_S7_21rocsparse_index_base_20rocsparse_diag_type_20rocsparse_direction_.has_indirect_call, 0
	.section	.AMDGPU.csdata,"",@progbits
; Kernel info:
; codeLenInByte = 1488
; TotalNumSgprs: 46
; NumVgprs: 20
; ScratchSize: 0
; MemoryBound: 0
; FloatMode: 240
; IeeeMode: 1
; LDSByteSize: 0 bytes/workgroup (compile time only)
; SGPRBlocks: 5
; VGPRBlocks: 4
; NumSGPRsForWavesPerEU: 46
; NumVGPRsForWavesPerEU: 20
; Occupancy: 10
; WaveLimiterHint : 1
; COMPUTE_PGM_RSRC2:SCRATCH_EN: 0
; COMPUTE_PGM_RSRC2:USER_SGPR: 6
; COMPUTE_PGM_RSRC2:TRAP_HANDLER: 0
; COMPUTE_PGM_RSRC2:TGID_X_EN: 1
; COMPUTE_PGM_RSRC2:TGID_Y_EN: 0
; COMPUTE_PGM_RSRC2:TGID_Z_EN: 0
; COMPUTE_PGM_RSRC2:TIDIG_COMP_CNT: 0
	.section	.text._ZN9rocsparseL24bsrsm_lower_large_kernelILj64ELj16ELb0EdEEviiPKiS2_PKT2_iPS3_iPiS2_S7_21rocsparse_index_base_20rocsparse_diag_type_20rocsparse_direction_,"axG",@progbits,_ZN9rocsparseL24bsrsm_lower_large_kernelILj64ELj16ELb0EdEEviiPKiS2_PKT2_iPS3_iPiS2_S7_21rocsparse_index_base_20rocsparse_diag_type_20rocsparse_direction_,comdat
	.globl	_ZN9rocsparseL24bsrsm_lower_large_kernelILj64ELj16ELb0EdEEviiPKiS2_PKT2_iPS3_iPiS2_S7_21rocsparse_index_base_20rocsparse_diag_type_20rocsparse_direction_ ; -- Begin function _ZN9rocsparseL24bsrsm_lower_large_kernelILj64ELj16ELb0EdEEviiPKiS2_PKT2_iPS3_iPiS2_S7_21rocsparse_index_base_20rocsparse_diag_type_20rocsparse_direction_
	.p2align	8
	.type	_ZN9rocsparseL24bsrsm_lower_large_kernelILj64ELj16ELb0EdEEviiPKiS2_PKT2_iPS3_iPiS2_S7_21rocsparse_index_base_20rocsparse_diag_type_20rocsparse_direction_,@function
_ZN9rocsparseL24bsrsm_lower_large_kernelILj64ELj16ELb0EdEEviiPKiS2_PKT2_iPS3_iPiS2_S7_21rocsparse_index_base_20rocsparse_diag_type_20rocsparse_direction_: ; @_ZN9rocsparseL24bsrsm_lower_large_kernelILj64ELj16ELb0EdEEviiPKiS2_PKT2_iPS3_iPiS2_S7_21rocsparse_index_base_20rocsparse_diag_type_20rocsparse_direction_
; %bb.0:
	s_load_dwordx2 s[24:25], s[4:5], 0x0
	s_load_dwordx4 s[16:19], s[4:5], 0x8
	s_load_dwordx4 s[8:11], s[4:5], 0x38
	s_load_dwordx2 s[20:21], s[4:5], 0x48
	v_lshrrev_b32_e32 v8, 2, v0
	v_and_b32_e32 v7, 3, v0
	s_waitcnt lgkmcnt(0)
	v_cvt_f32_u32_e32 v1, s24
	s_sub_i32 s0, 0, s24
	v_rcp_iflag_f32_e32 v1, v1
	v_mul_f32_e32 v1, 0x4f7ffffe, v1
	v_cvt_u32_f32_e32 v1, v1
	v_readfirstlane_b32 s1, v1
	s_mul_i32 s0, s0, s1
	s_mul_hi_u32 s0, s1, s0
	s_add_i32 s1, s1, s0
	s_mul_hi_u32 s0, s6, s1
	s_mul_i32 s1, s0, s24
	s_sub_i32 s1, s6, s1
	s_add_i32 s2, s0, 1
	s_sub_i32 s3, s1, s24
	s_cmp_ge_u32 s1, s24
	s_cselect_b32 s0, s2, s0
	s_cselect_b32 s1, s3, s1
	s_add_i32 s2, s0, 1
	s_cmp_ge_u32 s1, s24
	s_cselect_b32 s26, s2, s0
	s_mul_i32 s33, s26, s24
	s_sub_i32 s0, s6, s33
	s_ashr_i32 s1, s0, 31
	s_lshl_b64 s[0:1], s[0:1], 2
	s_add_u32 s0, s10, s0
	s_addc_u32 s1, s11, s1
	s_load_dword s6, s[0:1], 0x0
	s_load_dwordx2 s[10:11], s[4:5], 0x18
	s_load_dword s34, s[4:5], 0x20
	s_load_dwordx2 s[22:23], s[4:5], 0x28
	s_load_dword s35, s[4:5], 0x30
	s_load_dwordx4 s[12:15], s[4:5], 0x50
	s_waitcnt lgkmcnt(0)
	s_ashr_i32 s7, s6, 31
	s_lshl_b64 s[0:1], s[6:7], 2
	s_add_u32 s0, s16, s0
	s_addc_u32 s1, s17, s1
	s_load_dwordx2 s[2:3], s[0:1], 0x0
	s_lshl_b32 s36, s26, 4
	v_or_b32_e32 v1, s36, v8
	s_mul_i32 s7, s6, s34
	v_cmp_gt_i32_e32 vcc, s25, v1
	s_waitcnt lgkmcnt(0)
	s_sub_i32 s4, s2, s12
	s_cmp_ge_i32 s2, s3
	s_mul_i32 s37, s34, s34
	v_cmp_eq_u32_e64 s[0:1], 0, v0
	s_cbranch_scc1 .LBB23_17
; %bb.1:
	s_mul_i32 s5, s34, s4
	v_add_u32_e32 v2, s5, v7
	v_mul_lo_u32 v9, s34, v2
	s_sub_i32 s15, s3, s12
	v_cmp_gt_i32_e64 s[2:3], s34, v7
	s_cmp_lg_u32 s14, 0
	s_cselect_b64 s[16:17], -1, 0
	s_and_b64 s[2:3], vcc, s[2:3]
	s_mul_i32 s38, s35, s34
	s_lshl_b32 s39, s34, 2
	v_mov_b32_e32 v10, 0
	s_branch .LBB23_3
.LBB23_2:                               ;   in Loop: Header=BB23_3 Depth=1
                                        ; implicit-def: $vgpr9
	s_and_b64 vcc, exec, s[26:27]
	s_cbranch_vccnz .LBB23_18
.LBB23_3:                               ; =>This Loop Header: Depth=1
                                        ;     Child Loop BB23_6 Depth 2
                                        ;     Child Loop BB23_10 Depth 2
                                        ;       Child Loop BB23_12 Depth 3
	s_ashr_i32 s5, s4, 31
	s_lshl_b64 s[26:27], s[4:5], 2
	s_add_u32 s26, s18, s26
	s_addc_u32 s27, s19, s27
	global_load_dword v2, v10, s[26:27]
	s_mov_b64 s[26:27], -1
	s_waitcnt vmcnt(0)
	v_readfirstlane_b32 s5, v2
	s_sub_i32 s5, s5, s12
	s_cmp_ge_i32 s5, s6
	s_cbranch_scc1 .LBB23_2
; %bb.4:                                ;   in Loop: Header=BB23_3 Depth=1
	s_and_saveexec_b64 s[26:27], s[0:1]
	s_cbranch_execz .LBB23_7
; %bb.5:                                ;   in Loop: Header=BB23_3 Depth=1
	s_add_i32 s28, s5, s33
	s_ashr_i32 s29, s28, 31
	s_lshl_b64 s[28:29], s[28:29], 2
	s_add_u32 s28, s8, s28
	s_addc_u32 s29, s9, s29
	global_load_dword v2, v10, s[28:29] glc
	s_waitcnt vmcnt(0)
	v_cmp_ne_u32_e32 vcc, 0, v2
	s_cbranch_vccnz .LBB23_7
.LBB23_6:                               ;   Parent Loop BB23_3 Depth=1
                                        ; =>  This Inner Loop Header: Depth=2
	global_load_dword v2, v10, s[28:29] glc
	s_waitcnt vmcnt(0)
	v_cmp_eq_u32_e32 vcc, 0, v2
	s_cbranch_vccnz .LBB23_6
.LBB23_7:                               ;   in Loop: Header=BB23_3 Depth=1
	s_or_b64 exec, exec, s[26:27]
	buffer_wbinvl1_vol
	; wave barrier
	s_and_saveexec_b64 s[26:27], s[2:3]
	s_cbranch_execz .LBB23_16
; %bb.8:                                ;   in Loop: Header=BB23_3 Depth=1
	s_mul_i32 s28, s38, s5
	s_mul_i32 s40, s4, s34
	v_add_u32_e32 v11, s28, v1
	s_mov_b64 s[28:29], 0
	v_mov_b32_e32 v12, v9
	v_mov_b32_e32 v13, v7
	s_branch .LBB23_10
.LBB23_9:                               ;   in Loop: Header=BB23_10 Depth=2
	v_add_u32_e32 v4, s7, v13
	v_mad_u64_u32 v[4:5], s[30:31], v4, s35, v[1:2]
	v_mov_b32_e32 v6, s23
	v_add_u32_e32 v13, 4, v13
	v_ashrrev_i32_e32 v5, 31, v4
	v_lshlrev_b64 v[4:5], 3, v[4:5]
	v_add_u32_e32 v12, s39, v12
	v_add_co_u32_e32 v4, vcc, s22, v4
	v_addc_co_u32_e32 v5, vcc, v6, v5, vcc
	global_load_dwordx2 v[14:15], v[4:5], off
	v_cmp_le_i32_e32 vcc, s34, v13
	s_or_b64 s[28:29], vcc, s[28:29]
	s_waitcnt vmcnt(0)
	v_add_f64 v[2:3], v[14:15], -v[2:3]
	global_store_dwordx2 v[4:5], v[2:3], off
	s_andn2_b64 exec, exec, s[28:29]
	s_cbranch_execz .LBB23_16
.LBB23_10:                              ;   Parent Loop BB23_3 Depth=1
                                        ; =>  This Loop Header: Depth=2
                                        ;       Child Loop BB23_12 Depth 3
	v_mov_b32_e32 v2, 0
	v_mov_b32_e32 v3, 0
	s_mov_b32 s41, 0
	v_mov_b32_e32 v4, v11
	s_branch .LBB23_12
.LBB23_11:                              ;   in Loop: Header=BB23_12 Depth=3
	v_ashrrev_i32_e32 v6, 31, v5
	v_lshlrev_b64 v[5:6], 3, v[5:6]
	v_mov_b32_e32 v14, s11
	v_add_co_u32_e32 v5, vcc, s10, v5
	v_addc_co_u32_e32 v6, vcc, v14, v6, vcc
	global_load_dwordx2 v[14:15], v[5:6], off
	v_ashrrev_i32_e32 v5, 31, v4
	v_lshlrev_b64 v[5:6], 3, v[4:5]
	v_mov_b32_e32 v16, s23
	v_add_co_u32_e32 v5, vcc, s22, v5
	v_addc_co_u32_e32 v6, vcc, v16, v6, vcc
	global_load_dwordx2 v[5:6], v[5:6], off
	s_add_i32 s41, s41, 1
	s_cmp_eq_u32 s34, s41
	v_add_u32_e32 v4, s35, v4
	s_waitcnt vmcnt(0)
	v_fma_f64 v[2:3], v[14:15], v[5:6], v[2:3]
	s_cbranch_scc1 .LBB23_9
.LBB23_12:                              ;   Parent Loop BB23_3 Depth=1
                                        ;     Parent Loop BB23_10 Depth=2
                                        ; =>    This Inner Loop Header: Depth=3
	s_and_b64 vcc, exec, s[16:17]
	s_cbranch_vccz .LBB23_14
; %bb.13:                               ;   in Loop: Header=BB23_12 Depth=3
	s_add_i32 s30, s41, s40
	s_mul_i32 s30, s30, s34
	v_add_u32_e32 v5, s30, v13
	s_cbranch_execnz .LBB23_11
	s_branch .LBB23_15
.LBB23_14:                              ;   in Loop: Header=BB23_12 Depth=3
                                        ; implicit-def: $vgpr5
.LBB23_15:                              ;   in Loop: Header=BB23_12 Depth=3
	v_add_u32_e32 v5, s41, v12
	s_branch .LBB23_11
.LBB23_16:                              ;   in Loop: Header=BB23_3 Depth=1
	s_or_b64 exec, exec, s[26:27]
	s_add_i32 s4, s4, 1
	s_cmp_ge_i32 s4, s15
	v_add_u32_e32 v9, s37, v9
	s_cselect_b64 s[26:27], -1, 0
	s_and_b64 vcc, exec, s[26:27]
	s_cbranch_vccz .LBB23_3
	s_branch .LBB23_18
.LBB23_17:
	s_mov_b32 s5, s24
.LBB23_18:
	s_cmp_lt_i32 s6, s24
	s_cselect_b64 s[2:3], -1, 0
	s_cmp_eq_u32 s6, s5
	s_cselect_b64 s[0:1], -1, 0
	v_cmp_gt_i32_e32 vcc, s25, v1
	s_and_b64 s[0:1], vcc, s[0:1]
	s_cmp_gt_i32 s34, 0
	s_cselect_b64 s[16:17], -1, 0
	s_and_b64 s[0:1], s[0:1], s[16:17]
	s_mov_b32 s28, 0
	s_and_b64 s[18:19], s[0:1], s[2:3]
	s_mov_b64 s[0:1], 0
	s_and_saveexec_b64 s[16:17], s[18:19]
	s_cbranch_execz .LBB23_33
; %bb.19:
	v_add_u32_e32 v2, s7, v7
	v_mul_lo_u32 v2, s35, v2
	s_cmp_eq_u32 s13, 0
	s_cselect_b64 s[0:1], -1, 0
	s_cmp_lg_u32 s14, 0
	v_add_u32_e32 v2, s35, v2
	v_add3_u32 v8, v8, v2, s36
	v_cndmask_b32_e64 v2, 0, 1, s[0:1]
	s_cselect_b64 s[14:15], -1, 0
	v_add_u32_e32 v9, 1, v7
	s_mul_i32 s13, s4, s34
	s_lshl_b32 s29, s35, 2
	s_mul_i32 s30, s4, s37
	s_add_i32 s31, s34, 1
	s_mov_b64 s[4:5], 0
	v_cmp_ne_u32_e64 s[0:1], 1, v2
	v_mov_b32_e32 v10, 0
	v_mov_b32_e32 v11, s23
	s_branch .LBB23_21
.LBB23_20:                              ;   in Loop: Header=BB23_21 Depth=1
	s_or_b64 exec, exec, s[18:19]
	s_add_i32 s28, s28, 1
	s_add_i32 s30, s30, s31
	s_cmp_eq_u32 s28, s34
	v_add_u32_e32 v8, s35, v8
	s_cbranch_scc1 .LBB23_32
.LBB23_21:                              ; =>This Loop Header: Depth=1
                                        ;     Child Loop BB23_28 Depth 2
	v_mov_b32_e32 v4, 0
	v_mov_b32_e32 v5, 0x3ff00000
	s_and_b64 vcc, exec, s[0:1]
	s_cbranch_vccnz .LBB23_23
; %bb.22:                               ;   in Loop: Header=BB23_21 Depth=1
	s_add_i32 s18, s28, s13
	s_mul_i32 s18, s18, s34
	s_add_i32 s18, s18, s28
	s_ashr_i32 s19, s18, 31
	s_lshl_b64 s[18:19], s[18:19], 3
	s_add_u32 s18, s10, s18
	s_addc_u32 s19, s11, s19
	global_load_dwordx2 v[4:5], v10, s[18:19]
.LBB23_23:                              ;   in Loop: Header=BB23_21 Depth=1
	s_add_i32 s18, s28, s7
	s_mul_i32 s18, s18, s35
	s_waitcnt vmcnt(0)
	v_add_u32_e32 v2, s18, v1
	v_ashrrev_i32_e32 v3, 31, v2
	v_lshlrev_b64 v[2:3], 3, v[2:3]
	v_add_co_u32_e32 v6, vcc, s22, v2
	v_addc_co_u32_e32 v7, vcc, v11, v3, vcc
	global_load_dwordx2 v[2:3], v[6:7], off
	s_waitcnt vmcnt(1)
	v_cmp_eq_f64_e32 vcc, 0, v[4:5]
	s_cbranch_vccnz .LBB23_25
; %bb.24:                               ;   in Loop: Header=BB23_21 Depth=1
	s_waitcnt vmcnt(0)
	v_div_scale_f64 v[12:13], s[18:19], v[4:5], v[4:5], v[2:3]
	v_div_scale_f64 v[18:19], vcc, v[2:3], v[4:5], v[2:3]
	v_rcp_f64_e32 v[14:15], v[12:13]
	v_fma_f64 v[16:17], -v[12:13], v[14:15], 1.0
	v_fma_f64 v[14:15], v[14:15], v[16:17], v[14:15]
	v_fma_f64 v[16:17], -v[12:13], v[14:15], 1.0
	v_fma_f64 v[14:15], v[14:15], v[16:17], v[14:15]
	v_mul_f64 v[16:17], v[18:19], v[14:15]
	v_fma_f64 v[12:13], -v[12:13], v[16:17], v[18:19]
	v_div_fmas_f64 v[12:13], v[12:13], v[14:15], v[16:17]
	v_div_fixup_f64 v[2:3], v[12:13], v[4:5], v[2:3]
	global_store_dwordx2 v[6:7], v[2:3], off
	v_add_u32_e32 v7, s28, v9
	v_cmp_gt_i32_e32 vcc, s34, v7
	s_and_saveexec_b64 s[18:19], vcc
	s_cbranch_execz .LBB23_20
	s_branch .LBB23_26
.LBB23_25:                              ;   in Loop: Header=BB23_21 Depth=1
	s_mov_b64 s[4:5], -1
	v_add_u32_e32 v7, s28, v9
	v_cmp_gt_i32_e32 vcc, s34, v7
	s_and_saveexec_b64 s[18:19], vcc
	s_cbranch_execz .LBB23_20
.LBB23_26:                              ;   in Loop: Header=BB23_21 Depth=1
	s_mov_b64 s[24:25], 0
	v_mov_b32_e32 v4, v8
	v_mov_b32_e32 v12, v9
	s_branch .LBB23_28
.LBB23_27:                              ;   in Loop: Header=BB23_28 Depth=2
	v_ashrrev_i32_e32 v6, 31, v5
	v_lshlrev_b64 v[5:6], 3, v[5:6]
	v_mov_b32_e32 v13, s11
	v_add_co_u32_e32 v5, vcc, s10, v5
	v_addc_co_u32_e32 v6, vcc, v13, v6, vcc
	global_load_dwordx2 v[13:14], v[5:6], off
	v_ashrrev_i32_e32 v5, 31, v4
	v_lshlrev_b64 v[5:6], 3, v[4:5]
	v_mov_b32_e32 v15, s23
	v_add_co_u32_e32 v5, vcc, s22, v5
	v_addc_co_u32_e32 v6, vcc, v15, v6, vcc
	global_load_dwordx2 v[15:16], v[5:6], off
	v_add_u32_e32 v12, 4, v12
	v_add_u32_e32 v7, 4, v7
	;; [unrolled: 1-line block ×3, first 2 shown]
	s_waitcnt vmcnt(0)
	v_fma_f64 v[13:14], -v[2:3], v[13:14], v[15:16]
	v_add_u32_e32 v15, s28, v12
	v_cmp_le_i32_e32 vcc, s34, v15
	s_or_b64 s[24:25], vcc, s[24:25]
	global_store_dwordx2 v[5:6], v[13:14], off
	s_andn2_b64 exec, exec, s[24:25]
	s_cbranch_execz .LBB23_20
.LBB23_28:                              ;   Parent Loop BB23_21 Depth=1
                                        ; =>  This Inner Loop Header: Depth=2
	s_and_b64 vcc, exec, s[14:15]
	s_cbranch_vccz .LBB23_30
; %bb.29:                               ;   in Loop: Header=BB23_28 Depth=2
	v_add_u32_e32 v5, s30, v12
	s_cbranch_execnz .LBB23_27
	s_branch .LBB23_31
.LBB23_30:                              ;   in Loop: Header=BB23_28 Depth=2
                                        ; implicit-def: $vgpr5
.LBB23_31:                              ;   in Loop: Header=BB23_28 Depth=2
	v_add_u32_e32 v5, s13, v7
	v_mul_lo_u32 v5, v5, s34
	v_add_u32_e32 v5, s28, v5
	s_branch .LBB23_27
.LBB23_32:
	s_and_b64 s[0:1], s[4:5], exec
.LBB23_33:
	s_or_b64 exec, exec, s[16:17]
	v_cmp_eq_u32_e32 vcc, 0, v0
	s_and_b64 s[2:3], vcc, s[2:3]
	s_waitcnt vmcnt(0)
	buffer_wbinvl1_vol
	; wave barrier
	s_and_saveexec_b64 s[4:5], s[2:3]
	s_cbranch_execz .LBB23_37
; %bb.34:
	s_add_i32 s2, s6, s33
	s_ashr_i32 s3, s2, 31
	s_lshl_b64 s[2:3], s[2:3], 2
	s_add_u32 s2, s8, s2
	s_addc_u32 s3, s9, s3
	v_mov_b32_e32 v0, 0
	v_mov_b32_e32 v1, 1
	global_store_dword v0, v1, s[2:3]
	s_and_b64 exec, exec, s[0:1]
	s_cbranch_execz .LBB23_37
; %bb.35:
	v_mbcnt_lo_u32_b32 v0, exec_lo, 0
	v_mbcnt_hi_u32_b32 v0, exec_hi, v0
	v_cmp_eq_u32_e32 vcc, 0, v0
	s_and_b64 exec, exec, vcc
	s_cbranch_execz .LBB23_37
; %bb.36:
	s_add_i32 s0, s6, s12
	v_mov_b32_e32 v0, 0
	v_mov_b32_e32 v1, s0
	global_atomic_smin v0, v1, s[20:21]
.LBB23_37:
	s_endpgm
	.section	.rodata,"a",@progbits
	.p2align	6, 0x0
	.amdhsa_kernel _ZN9rocsparseL24bsrsm_lower_large_kernelILj64ELj16ELb0EdEEviiPKiS2_PKT2_iPS3_iPiS2_S7_21rocsparse_index_base_20rocsparse_diag_type_20rocsparse_direction_
		.amdhsa_group_segment_fixed_size 0
		.amdhsa_private_segment_fixed_size 0
		.amdhsa_kernarg_size 92
		.amdhsa_user_sgpr_count 6
		.amdhsa_user_sgpr_private_segment_buffer 1
		.amdhsa_user_sgpr_dispatch_ptr 0
		.amdhsa_user_sgpr_queue_ptr 0
		.amdhsa_user_sgpr_kernarg_segment_ptr 1
		.amdhsa_user_sgpr_dispatch_id 0
		.amdhsa_user_sgpr_flat_scratch_init 0
		.amdhsa_user_sgpr_private_segment_size 0
		.amdhsa_uses_dynamic_stack 0
		.amdhsa_system_sgpr_private_segment_wavefront_offset 0
		.amdhsa_system_sgpr_workgroup_id_x 1
		.amdhsa_system_sgpr_workgroup_id_y 0
		.amdhsa_system_sgpr_workgroup_id_z 0
		.amdhsa_system_sgpr_workgroup_info 0
		.amdhsa_system_vgpr_workitem_id 0
		.amdhsa_next_free_vgpr 20
		.amdhsa_next_free_sgpr 42
		.amdhsa_reserve_vcc 1
		.amdhsa_reserve_flat_scratch 0
		.amdhsa_float_round_mode_32 0
		.amdhsa_float_round_mode_16_64 0
		.amdhsa_float_denorm_mode_32 3
		.amdhsa_float_denorm_mode_16_64 3
		.amdhsa_dx10_clamp 1
		.amdhsa_ieee_mode 1
		.amdhsa_fp16_overflow 0
		.amdhsa_exception_fp_ieee_invalid_op 0
		.amdhsa_exception_fp_denorm_src 0
		.amdhsa_exception_fp_ieee_div_zero 0
		.amdhsa_exception_fp_ieee_overflow 0
		.amdhsa_exception_fp_ieee_underflow 0
		.amdhsa_exception_fp_ieee_inexact 0
		.amdhsa_exception_int_div_zero 0
	.end_amdhsa_kernel
	.section	.text._ZN9rocsparseL24bsrsm_lower_large_kernelILj64ELj16ELb0EdEEviiPKiS2_PKT2_iPS3_iPiS2_S7_21rocsparse_index_base_20rocsparse_diag_type_20rocsparse_direction_,"axG",@progbits,_ZN9rocsparseL24bsrsm_lower_large_kernelILj64ELj16ELb0EdEEviiPKiS2_PKT2_iPS3_iPiS2_S7_21rocsparse_index_base_20rocsparse_diag_type_20rocsparse_direction_,comdat
.Lfunc_end23:
	.size	_ZN9rocsparseL24bsrsm_lower_large_kernelILj64ELj16ELb0EdEEviiPKiS2_PKT2_iPS3_iPiS2_S7_21rocsparse_index_base_20rocsparse_diag_type_20rocsparse_direction_, .Lfunc_end23-_ZN9rocsparseL24bsrsm_lower_large_kernelILj64ELj16ELb0EdEEviiPKiS2_PKT2_iPS3_iPiS2_S7_21rocsparse_index_base_20rocsparse_diag_type_20rocsparse_direction_
                                        ; -- End function
	.set _ZN9rocsparseL24bsrsm_lower_large_kernelILj64ELj16ELb0EdEEviiPKiS2_PKT2_iPS3_iPiS2_S7_21rocsparse_index_base_20rocsparse_diag_type_20rocsparse_direction_.num_vgpr, 20
	.set _ZN9rocsparseL24bsrsm_lower_large_kernelILj64ELj16ELb0EdEEviiPKiS2_PKT2_iPS3_iPiS2_S7_21rocsparse_index_base_20rocsparse_diag_type_20rocsparse_direction_.num_agpr, 0
	.set _ZN9rocsparseL24bsrsm_lower_large_kernelILj64ELj16ELb0EdEEviiPKiS2_PKT2_iPS3_iPiS2_S7_21rocsparse_index_base_20rocsparse_diag_type_20rocsparse_direction_.numbered_sgpr, 42
	.set _ZN9rocsparseL24bsrsm_lower_large_kernelILj64ELj16ELb0EdEEviiPKiS2_PKT2_iPS3_iPiS2_S7_21rocsparse_index_base_20rocsparse_diag_type_20rocsparse_direction_.num_named_barrier, 0
	.set _ZN9rocsparseL24bsrsm_lower_large_kernelILj64ELj16ELb0EdEEviiPKiS2_PKT2_iPS3_iPiS2_S7_21rocsparse_index_base_20rocsparse_diag_type_20rocsparse_direction_.private_seg_size, 0
	.set _ZN9rocsparseL24bsrsm_lower_large_kernelILj64ELj16ELb0EdEEviiPKiS2_PKT2_iPS3_iPiS2_S7_21rocsparse_index_base_20rocsparse_diag_type_20rocsparse_direction_.uses_vcc, 1
	.set _ZN9rocsparseL24bsrsm_lower_large_kernelILj64ELj16ELb0EdEEviiPKiS2_PKT2_iPS3_iPiS2_S7_21rocsparse_index_base_20rocsparse_diag_type_20rocsparse_direction_.uses_flat_scratch, 0
	.set _ZN9rocsparseL24bsrsm_lower_large_kernelILj64ELj16ELb0EdEEviiPKiS2_PKT2_iPS3_iPiS2_S7_21rocsparse_index_base_20rocsparse_diag_type_20rocsparse_direction_.has_dyn_sized_stack, 0
	.set _ZN9rocsparseL24bsrsm_lower_large_kernelILj64ELj16ELb0EdEEviiPKiS2_PKT2_iPS3_iPiS2_S7_21rocsparse_index_base_20rocsparse_diag_type_20rocsparse_direction_.has_recursion, 0
	.set _ZN9rocsparseL24bsrsm_lower_large_kernelILj64ELj16ELb0EdEEviiPKiS2_PKT2_iPS3_iPiS2_S7_21rocsparse_index_base_20rocsparse_diag_type_20rocsparse_direction_.has_indirect_call, 0
	.section	.AMDGPU.csdata,"",@progbits
; Kernel info:
; codeLenInByte = 1496
; TotalNumSgprs: 46
; NumVgprs: 20
; ScratchSize: 0
; MemoryBound: 0
; FloatMode: 240
; IeeeMode: 1
; LDSByteSize: 0 bytes/workgroup (compile time only)
; SGPRBlocks: 5
; VGPRBlocks: 4
; NumSGPRsForWavesPerEU: 46
; NumVGPRsForWavesPerEU: 20
; Occupancy: 10
; WaveLimiterHint : 1
; COMPUTE_PGM_RSRC2:SCRATCH_EN: 0
; COMPUTE_PGM_RSRC2:USER_SGPR: 6
; COMPUTE_PGM_RSRC2:TRAP_HANDLER: 0
; COMPUTE_PGM_RSRC2:TGID_X_EN: 1
; COMPUTE_PGM_RSRC2:TGID_Y_EN: 0
; COMPUTE_PGM_RSRC2:TGID_Z_EN: 0
; COMPUTE_PGM_RSRC2:TIDIG_COMP_CNT: 0
	.section	.text._ZN9rocsparseL24bsrsm_upper_large_kernelILj128ELj16ELb0EdEEviiPKiS2_PKT2_iPS3_iPiS2_S7_21rocsparse_index_base_20rocsparse_diag_type_20rocsparse_direction_,"axG",@progbits,_ZN9rocsparseL24bsrsm_upper_large_kernelILj128ELj16ELb0EdEEviiPKiS2_PKT2_iPS3_iPiS2_S7_21rocsparse_index_base_20rocsparse_diag_type_20rocsparse_direction_,comdat
	.globl	_ZN9rocsparseL24bsrsm_upper_large_kernelILj128ELj16ELb0EdEEviiPKiS2_PKT2_iPS3_iPiS2_S7_21rocsparse_index_base_20rocsparse_diag_type_20rocsparse_direction_ ; -- Begin function _ZN9rocsparseL24bsrsm_upper_large_kernelILj128ELj16ELb0EdEEviiPKiS2_PKT2_iPS3_iPiS2_S7_21rocsparse_index_base_20rocsparse_diag_type_20rocsparse_direction_
	.p2align	8
	.type	_ZN9rocsparseL24bsrsm_upper_large_kernelILj128ELj16ELb0EdEEviiPKiS2_PKT2_iPS3_iPiS2_S7_21rocsparse_index_base_20rocsparse_diag_type_20rocsparse_direction_,@function
_ZN9rocsparseL24bsrsm_upper_large_kernelILj128ELj16ELb0EdEEviiPKiS2_PKT2_iPS3_iPiS2_S7_21rocsparse_index_base_20rocsparse_diag_type_20rocsparse_direction_: ; @_ZN9rocsparseL24bsrsm_upper_large_kernelILj128ELj16ELb0EdEEviiPKiS2_PKT2_iPS3_iPiS2_S7_21rocsparse_index_base_20rocsparse_diag_type_20rocsparse_direction_
; %bb.0:
	s_load_dwordx2 s[24:25], s[4:5], 0x0
	s_load_dwordx4 s[16:19], s[4:5], 0x8
	s_load_dwordx4 s[8:11], s[4:5], 0x38
	s_load_dwordx2 s[20:21], s[4:5], 0x48
	v_lshrrev_b32_e32 v7, 3, v0
	v_and_b32_e32 v8, 7, v0
	s_waitcnt lgkmcnt(0)
	v_cvt_f32_u32_e32 v1, s24
	s_sub_i32 s0, 0, s24
	v_rcp_iflag_f32_e32 v1, v1
	v_mul_f32_e32 v1, 0x4f7ffffe, v1
	v_cvt_u32_f32_e32 v1, v1
	v_readfirstlane_b32 s1, v1
	s_mul_i32 s0, s0, s1
	s_mul_hi_u32 s0, s1, s0
	s_add_i32 s1, s1, s0
	s_mul_hi_u32 s0, s6, s1
	s_mul_i32 s1, s0, s24
	s_sub_i32 s1, s6, s1
	s_add_i32 s2, s0, 1
	s_sub_i32 s3, s1, s24
	s_cmp_ge_u32 s1, s24
	s_cselect_b32 s0, s2, s0
	s_cselect_b32 s1, s3, s1
	s_add_i32 s2, s0, 1
	s_cmp_ge_u32 s1, s24
	s_cselect_b32 s26, s2, s0
	s_mul_i32 s33, s26, s24
	s_sub_i32 s0, s6, s33
	s_ashr_i32 s1, s0, 31
	s_lshl_b64 s[0:1], s[0:1], 2
	s_add_u32 s0, s10, s0
	s_addc_u32 s1, s11, s1
	s_load_dword s6, s[0:1], 0x0
	s_load_dwordx2 s[10:11], s[4:5], 0x18
	s_load_dword s34, s[4:5], 0x20
	s_load_dwordx2 s[22:23], s[4:5], 0x28
	s_load_dword s35, s[4:5], 0x30
	s_load_dwordx4 s[12:15], s[4:5], 0x50
	s_waitcnt lgkmcnt(0)
	s_ashr_i32 s7, s6, 31
	s_lshl_b64 s[0:1], s[6:7], 2
	s_add_u32 s0, s16, s0
	s_addc_u32 s1, s17, s1
	s_load_dwordx2 s[2:3], s[0:1], 0x0
	s_lshl_b32 s36, s26, 4
	s_not_b32 s0, s12
	v_or_b32_e32 v1, s36, v7
	v_cmp_gt_i32_e32 vcc, s25, v1
	s_waitcnt lgkmcnt(0)
	s_sub_i32 s15, s2, s12
	s_add_i32 s4, s3, s0
	s_cmp_lt_i32 s4, s15
	s_mul_i32 s7, s6, s34
	v_cmp_eq_u32_e64 s[0:1], 0, v0
	s_cbranch_scc1 .LBB24_17
; %bb.1:
	s_mul_i32 s5, s34, s4
	v_add_u32_e32 v2, s5, v8
	v_mul_lo_u32 v9, s34, v2
	v_cmp_gt_i32_e64 s[2:3], s34, v8
	s_cmp_lg_u32 s14, 0
	s_cselect_b64 s[16:17], -1, 0
	s_and_b64 s[2:3], vcc, s[2:3]
	s_mul_i32 s37, s35, s34
	s_mul_i32 s38, s34, s34
	s_lshl_b32 s39, s34, 3
	v_mov_b32_e32 v10, 0
	s_branch .LBB24_3
.LBB24_2:                               ;   in Loop: Header=BB24_3 Depth=1
                                        ; implicit-def: $vgpr9
	s_and_b64 vcc, exec, s[26:27]
	s_cbranch_vccnz .LBB24_18
.LBB24_3:                               ; =>This Loop Header: Depth=1
                                        ;     Child Loop BB24_6 Depth 2
                                        ;     Child Loop BB24_10 Depth 2
                                        ;       Child Loop BB24_12 Depth 3
	s_ashr_i32 s5, s4, 31
	s_lshl_b64 s[26:27], s[4:5], 2
	s_add_u32 s26, s18, s26
	s_addc_u32 s27, s19, s27
	global_load_dword v2, v10, s[26:27]
	s_mov_b64 s[26:27], -1
	s_waitcnt vmcnt(0)
	v_readfirstlane_b32 s5, v2
	s_sub_i32 s5, s5, s12
	s_cmp_le_i32 s5, s6
	s_cbranch_scc1 .LBB24_2
; %bb.4:                                ;   in Loop: Header=BB24_3 Depth=1
	s_and_saveexec_b64 s[26:27], s[0:1]
	s_cbranch_execz .LBB24_7
; %bb.5:                                ;   in Loop: Header=BB24_3 Depth=1
	s_add_i32 s28, s5, s33
	s_ashr_i32 s29, s28, 31
	s_lshl_b64 s[28:29], s[28:29], 2
	s_add_u32 s28, s8, s28
	s_addc_u32 s29, s9, s29
	global_load_dword v2, v10, s[28:29] glc
	s_waitcnt vmcnt(0)
	v_cmp_ne_u32_e32 vcc, 0, v2
	s_cbranch_vccnz .LBB24_7
.LBB24_6:                               ;   Parent Loop BB24_3 Depth=1
                                        ; =>  This Inner Loop Header: Depth=2
	global_load_dword v2, v10, s[28:29] glc
	s_waitcnt vmcnt(0)
	v_cmp_eq_u32_e32 vcc, 0, v2
	s_cbranch_vccnz .LBB24_6
.LBB24_7:                               ;   in Loop: Header=BB24_3 Depth=1
	s_or_b64 exec, exec, s[26:27]
	buffer_wbinvl1_vol
	s_barrier
	s_and_saveexec_b64 s[26:27], s[2:3]
	s_cbranch_execz .LBB24_16
; %bb.8:                                ;   in Loop: Header=BB24_3 Depth=1
	s_mul_i32 s28, s37, s5
	s_mul_i32 s40, s4, s34
	v_add_u32_e32 v11, s28, v1
	s_mov_b64 s[28:29], 0
	v_mov_b32_e32 v12, v9
	v_mov_b32_e32 v13, v8
	s_branch .LBB24_10
.LBB24_9:                               ;   in Loop: Header=BB24_10 Depth=2
	v_add_u32_e32 v4, s7, v13
	v_mad_u64_u32 v[4:5], s[30:31], v4, s35, v[1:2]
	v_mov_b32_e32 v6, s23
	v_add_u32_e32 v13, 8, v13
	v_ashrrev_i32_e32 v5, 31, v4
	v_lshlrev_b64 v[4:5], 3, v[4:5]
	v_add_u32_e32 v12, s39, v12
	v_add_co_u32_e32 v4, vcc, s22, v4
	v_addc_co_u32_e32 v5, vcc, v6, v5, vcc
	global_load_dwordx2 v[14:15], v[4:5], off
	v_cmp_le_i32_e32 vcc, s34, v13
	s_or_b64 s[28:29], vcc, s[28:29]
	s_waitcnt vmcnt(0)
	v_add_f64 v[2:3], v[14:15], -v[2:3]
	global_store_dwordx2 v[4:5], v[2:3], off
	s_andn2_b64 exec, exec, s[28:29]
	s_cbranch_execz .LBB24_16
.LBB24_10:                              ;   Parent Loop BB24_3 Depth=1
                                        ; =>  This Loop Header: Depth=2
                                        ;       Child Loop BB24_12 Depth 3
	v_mov_b32_e32 v2, 0
	v_mov_b32_e32 v3, 0
	s_mov_b32 s41, 0
	v_mov_b32_e32 v4, v11
	s_branch .LBB24_12
.LBB24_11:                              ;   in Loop: Header=BB24_12 Depth=3
	v_ashrrev_i32_e32 v6, 31, v5
	v_lshlrev_b64 v[5:6], 3, v[5:6]
	v_mov_b32_e32 v14, s11
	v_add_co_u32_e32 v5, vcc, s10, v5
	v_addc_co_u32_e32 v6, vcc, v14, v6, vcc
	global_load_dwordx2 v[14:15], v[5:6], off
	v_ashrrev_i32_e32 v5, 31, v4
	v_lshlrev_b64 v[5:6], 3, v[4:5]
	v_mov_b32_e32 v16, s23
	v_add_co_u32_e32 v5, vcc, s22, v5
	v_addc_co_u32_e32 v6, vcc, v16, v6, vcc
	global_load_dwordx2 v[5:6], v[5:6], off
	s_add_i32 s41, s41, 1
	s_cmp_eq_u32 s34, s41
	v_add_u32_e32 v4, s35, v4
	s_waitcnt vmcnt(0)
	v_fma_f64 v[2:3], v[14:15], v[5:6], v[2:3]
	s_cbranch_scc1 .LBB24_9
.LBB24_12:                              ;   Parent Loop BB24_3 Depth=1
                                        ;     Parent Loop BB24_10 Depth=2
                                        ; =>    This Inner Loop Header: Depth=3
	s_and_b64 vcc, exec, s[16:17]
	s_cbranch_vccz .LBB24_14
; %bb.13:                               ;   in Loop: Header=BB24_12 Depth=3
	s_add_i32 s30, s41, s40
	s_mul_i32 s30, s30, s34
	v_add_u32_e32 v5, s30, v13
	s_cbranch_execnz .LBB24_11
	s_branch .LBB24_15
.LBB24_14:                              ;   in Loop: Header=BB24_12 Depth=3
                                        ; implicit-def: $vgpr5
.LBB24_15:                              ;   in Loop: Header=BB24_12 Depth=3
	v_add_u32_e32 v5, s41, v12
	s_branch .LBB24_11
.LBB24_16:                              ;   in Loop: Header=BB24_3 Depth=1
	s_or_b64 exec, exec, s[26:27]
	s_add_i32 s28, s4, -1
	s_cmp_le_i32 s4, s15
	v_subrev_u32_e32 v9, s38, v9
	s_cselect_b64 s[26:27], -1, 0
	s_mov_b32 s4, s28
	s_and_b64 vcc, exec, s[26:27]
	s_cbranch_vccz .LBB24_3
	s_branch .LBB24_18
.LBB24_17:
	s_mov_b32 s5, s24
.LBB24_18:
	s_cmp_lt_i32 s6, s24
	s_cselect_b64 s[2:3], -1, 0
	s_cmp_eq_u32 s6, s5
	s_cselect_b64 s[0:1], -1, 0
	v_cmp_gt_i32_e32 vcc, s25, v1
	s_and_b64 s[0:1], vcc, s[0:1]
	s_cmp_gt_i32 s34, 0
	s_cselect_b64 s[16:17], -1, 0
	s_and_b64 s[0:1], s[0:1], s[16:17]
	s_and_b64 s[18:19], s[0:1], s[2:3]
	s_mov_b64 s[0:1], 0
	s_and_saveexec_b64 s[16:17], s[18:19]
	s_cbranch_execz .LBB24_35
; %bb.19:
	v_add_u32_e32 v2, s7, v8
	s_cmp_eq_u32 s13, 0
	v_mul_lo_u32 v2, s35, v2
	s_cselect_b64 s[0:1], -1, 0
	s_cmp_lg_u32 s14, 0
	s_cselect_b64 s[14:15], -1, 0
	s_mul_i32 s13, s4, s34
	s_add_i32 s4, s4, 1
	s_mul_i32 s4, s34, s4
	v_add3_u32 v9, v7, v2, s36
	s_add_i32 s4, s4, -1
	v_cndmask_b32_e64 v2, 0, 1, s[0:1]
	s_lshl_b32 s28, s35, 3
	s_mul_i32 s29, s34, s4
	s_mov_b64 s[4:5], 0
	v_cmp_ne_u32_e64 s[0:1], 1, v2
	v_mov_b32_e32 v10, 0
	v_mov_b32_e32 v11, s23
	s_mov_b32 s30, s34
.LBB24_20:                              ; =>This Loop Header: Depth=1
                                        ;     Child Loop BB24_27 Depth 2
	v_mov_b32_e32 v4, 0
	v_mov_b32_e32 v5, 0x3ff00000
	s_and_b64 vcc, exec, s[0:1]
	s_add_i32 s31, s30, -1
	s_cbranch_vccnz .LBB24_22
; %bb.21:                               ;   in Loop: Header=BB24_20 Depth=1
	s_add_i32 s18, s31, s13
	s_mul_i32 s18, s18, s34
	s_add_i32 s18, s18, s31
	s_ashr_i32 s19, s18, 31
	s_lshl_b64 s[18:19], s[18:19], 3
	s_add_u32 s18, s10, s18
	s_addc_u32 s19, s11, s19
	global_load_dwordx2 v[4:5], v10, s[18:19]
.LBB24_22:                              ;   in Loop: Header=BB24_20 Depth=1
	s_add_i32 s18, s31, s7
	s_mul_i32 s18, s18, s35
	s_waitcnt vmcnt(0)
	v_add_u32_e32 v2, s18, v1
	v_ashrrev_i32_e32 v3, 31, v2
	v_lshlrev_b64 v[2:3], 3, v[2:3]
	v_add_co_u32_e32 v6, vcc, s22, v2
	v_addc_co_u32_e32 v7, vcc, v11, v3, vcc
	global_load_dwordx2 v[2:3], v[6:7], off
	s_waitcnt vmcnt(1)
	v_cmp_eq_f64_e32 vcc, 0, v[4:5]
	s_cbranch_vccnz .LBB24_24
; %bb.23:                               ;   in Loop: Header=BB24_20 Depth=1
	s_waitcnt vmcnt(0)
	v_div_scale_f64 v[12:13], s[18:19], v[4:5], v[4:5], v[2:3]
	v_div_scale_f64 v[18:19], vcc, v[2:3], v[4:5], v[2:3]
	v_rcp_f64_e32 v[14:15], v[12:13]
	v_fma_f64 v[16:17], -v[12:13], v[14:15], 1.0
	v_fma_f64 v[14:15], v[14:15], v[16:17], v[14:15]
	v_fma_f64 v[16:17], -v[12:13], v[14:15], 1.0
	v_fma_f64 v[14:15], v[14:15], v[16:17], v[14:15]
	v_mul_f64 v[16:17], v[18:19], v[14:15]
	v_fma_f64 v[12:13], -v[12:13], v[16:17], v[18:19]
	v_div_fmas_f64 v[12:13], v[12:13], v[14:15], v[16:17]
	v_div_fixup_f64 v[2:3], v[12:13], v[4:5], v[2:3]
	global_store_dwordx2 v[6:7], v[2:3], off
	v_cmp_gt_i32_e32 vcc, s31, v8
	s_and_saveexec_b64 s[18:19], vcc
	s_cbranch_execnz .LBB24_25
	s_branch .LBB24_31
.LBB24_24:                              ;   in Loop: Header=BB24_20 Depth=1
	s_mov_b64 s[4:5], -1
	v_cmp_gt_i32_e32 vcc, s31, v8
	s_and_saveexec_b64 s[18:19], vcc
	s_cbranch_execz .LBB24_31
.LBB24_25:                              ;   in Loop: Header=BB24_20 Depth=1
	s_mov_b64 s[24:25], 0
	v_mov_b32_e32 v4, v9
	v_mov_b32_e32 v7, v8
	s_branch .LBB24_27
.LBB24_26:                              ;   in Loop: Header=BB24_27 Depth=2
	v_ashrrev_i32_e32 v6, 31, v5
	v_lshlrev_b64 v[5:6], 3, v[5:6]
	v_mov_b32_e32 v12, s11
	v_add_co_u32_e32 v5, vcc, s10, v5
	v_addc_co_u32_e32 v6, vcc, v12, v6, vcc
	global_load_dwordx2 v[12:13], v[5:6], off
	v_ashrrev_i32_e32 v5, 31, v4
	v_lshlrev_b64 v[5:6], 3, v[4:5]
	v_mov_b32_e32 v14, s23
	v_add_co_u32_e32 v5, vcc, s22, v5
	v_addc_co_u32_e32 v6, vcc, v14, v6, vcc
	global_load_dwordx2 v[14:15], v[5:6], off
	v_add_u32_e32 v7, 8, v7
	v_cmp_le_i32_e32 vcc, s31, v7
	s_or_b64 s[24:25], vcc, s[24:25]
	v_add_u32_e32 v4, s28, v4
	s_waitcnt vmcnt(0)
	v_fma_f64 v[12:13], -v[2:3], v[12:13], v[14:15]
	global_store_dwordx2 v[5:6], v[12:13], off
	s_andn2_b64 exec, exec, s[24:25]
	s_cbranch_execz .LBB24_31
.LBB24_27:                              ;   Parent Loop BB24_20 Depth=1
                                        ; =>  This Inner Loop Header: Depth=2
	s_and_b64 vcc, exec, s[14:15]
	s_cbranch_vccz .LBB24_29
; %bb.28:                               ;   in Loop: Header=BB24_27 Depth=2
	v_add_u32_e32 v5, s29, v7
	s_cbranch_execnz .LBB24_26
	s_branch .LBB24_30
.LBB24_29:                              ;   in Loop: Header=BB24_27 Depth=2
                                        ; implicit-def: $vgpr5
.LBB24_30:                              ;   in Loop: Header=BB24_27 Depth=2
	v_add_u32_e32 v5, s13, v7
	v_mul_lo_u32 v5, v5, s34
	v_add_u32_e32 v5, s31, v5
	s_branch .LBB24_26
.LBB24_31:                              ;   in Loop: Header=BB24_20 Depth=1
	s_or_b64 exec, exec, s[18:19]
; %bb.32:                               ;   in Loop: Header=BB24_20 Depth=1
	s_sub_i32 s29, s29, s34
	s_cmp_lt_i32 s30, 2
	s_cbranch_scc1 .LBB24_34
; %bb.33:                               ;   in Loop: Header=BB24_20 Depth=1
	s_mov_b32 s30, s31
	s_branch .LBB24_20
.LBB24_34:
	s_and_b64 s[0:1], s[4:5], exec
.LBB24_35:
	s_or_b64 exec, exec, s[16:17]
	v_cmp_eq_u32_e32 vcc, 0, v0
	s_and_b64 s[2:3], vcc, s[2:3]
	s_waitcnt vmcnt(0)
	buffer_wbinvl1_vol
	s_barrier
	s_and_saveexec_b64 s[4:5], s[2:3]
	s_cbranch_execz .LBB24_39
; %bb.36:
	s_add_i32 s2, s6, s33
	s_ashr_i32 s3, s2, 31
	s_lshl_b64 s[2:3], s[2:3], 2
	s_add_u32 s2, s8, s2
	s_addc_u32 s3, s9, s3
	v_mov_b32_e32 v0, 0
	v_mov_b32_e32 v1, 1
	global_store_dword v0, v1, s[2:3]
	s_and_b64 exec, exec, s[0:1]
	s_cbranch_execz .LBB24_39
; %bb.37:
	v_mbcnt_lo_u32_b32 v0, exec_lo, 0
	v_mbcnt_hi_u32_b32 v0, exec_hi, v0
	v_cmp_eq_u32_e32 vcc, 0, v0
	s_and_b64 exec, exec, vcc
	s_cbranch_execz .LBB24_39
; %bb.38:
	s_add_i32 s0, s6, s12
	v_mov_b32_e32 v0, 0
	v_mov_b32_e32 v1, s0
	global_atomic_smin v0, v1, s[20:21]
.LBB24_39:
	s_endpgm
	.section	.rodata,"a",@progbits
	.p2align	6, 0x0
	.amdhsa_kernel _ZN9rocsparseL24bsrsm_upper_large_kernelILj128ELj16ELb0EdEEviiPKiS2_PKT2_iPS3_iPiS2_S7_21rocsparse_index_base_20rocsparse_diag_type_20rocsparse_direction_
		.amdhsa_group_segment_fixed_size 0
		.amdhsa_private_segment_fixed_size 0
		.amdhsa_kernarg_size 92
		.amdhsa_user_sgpr_count 6
		.amdhsa_user_sgpr_private_segment_buffer 1
		.amdhsa_user_sgpr_dispatch_ptr 0
		.amdhsa_user_sgpr_queue_ptr 0
		.amdhsa_user_sgpr_kernarg_segment_ptr 1
		.amdhsa_user_sgpr_dispatch_id 0
		.amdhsa_user_sgpr_flat_scratch_init 0
		.amdhsa_user_sgpr_private_segment_size 0
		.amdhsa_uses_dynamic_stack 0
		.amdhsa_system_sgpr_private_segment_wavefront_offset 0
		.amdhsa_system_sgpr_workgroup_id_x 1
		.amdhsa_system_sgpr_workgroup_id_y 0
		.amdhsa_system_sgpr_workgroup_id_z 0
		.amdhsa_system_sgpr_workgroup_info 0
		.amdhsa_system_vgpr_workitem_id 0
		.amdhsa_next_free_vgpr 20
		.amdhsa_next_free_sgpr 42
		.amdhsa_reserve_vcc 1
		.amdhsa_reserve_flat_scratch 0
		.amdhsa_float_round_mode_32 0
		.amdhsa_float_round_mode_16_64 0
		.amdhsa_float_denorm_mode_32 3
		.amdhsa_float_denorm_mode_16_64 3
		.amdhsa_dx10_clamp 1
		.amdhsa_ieee_mode 1
		.amdhsa_fp16_overflow 0
		.amdhsa_exception_fp_ieee_invalid_op 0
		.amdhsa_exception_fp_denorm_src 0
		.amdhsa_exception_fp_ieee_div_zero 0
		.amdhsa_exception_fp_ieee_overflow 0
		.amdhsa_exception_fp_ieee_underflow 0
		.amdhsa_exception_fp_ieee_inexact 0
		.amdhsa_exception_int_div_zero 0
	.end_amdhsa_kernel
	.section	.text._ZN9rocsparseL24bsrsm_upper_large_kernelILj128ELj16ELb0EdEEviiPKiS2_PKT2_iPS3_iPiS2_S7_21rocsparse_index_base_20rocsparse_diag_type_20rocsparse_direction_,"axG",@progbits,_ZN9rocsparseL24bsrsm_upper_large_kernelILj128ELj16ELb0EdEEviiPKiS2_PKT2_iPS3_iPiS2_S7_21rocsparse_index_base_20rocsparse_diag_type_20rocsparse_direction_,comdat
.Lfunc_end24:
	.size	_ZN9rocsparseL24bsrsm_upper_large_kernelILj128ELj16ELb0EdEEviiPKiS2_PKT2_iPS3_iPiS2_S7_21rocsparse_index_base_20rocsparse_diag_type_20rocsparse_direction_, .Lfunc_end24-_ZN9rocsparseL24bsrsm_upper_large_kernelILj128ELj16ELb0EdEEviiPKiS2_PKT2_iPS3_iPiS2_S7_21rocsparse_index_base_20rocsparse_diag_type_20rocsparse_direction_
                                        ; -- End function
	.set _ZN9rocsparseL24bsrsm_upper_large_kernelILj128ELj16ELb0EdEEviiPKiS2_PKT2_iPS3_iPiS2_S7_21rocsparse_index_base_20rocsparse_diag_type_20rocsparse_direction_.num_vgpr, 20
	.set _ZN9rocsparseL24bsrsm_upper_large_kernelILj128ELj16ELb0EdEEviiPKiS2_PKT2_iPS3_iPiS2_S7_21rocsparse_index_base_20rocsparse_diag_type_20rocsparse_direction_.num_agpr, 0
	.set _ZN9rocsparseL24bsrsm_upper_large_kernelILj128ELj16ELb0EdEEviiPKiS2_PKT2_iPS3_iPiS2_S7_21rocsparse_index_base_20rocsparse_diag_type_20rocsparse_direction_.numbered_sgpr, 42
	.set _ZN9rocsparseL24bsrsm_upper_large_kernelILj128ELj16ELb0EdEEviiPKiS2_PKT2_iPS3_iPiS2_S7_21rocsparse_index_base_20rocsparse_diag_type_20rocsparse_direction_.num_named_barrier, 0
	.set _ZN9rocsparseL24bsrsm_upper_large_kernelILj128ELj16ELb0EdEEviiPKiS2_PKT2_iPS3_iPiS2_S7_21rocsparse_index_base_20rocsparse_diag_type_20rocsparse_direction_.private_seg_size, 0
	.set _ZN9rocsparseL24bsrsm_upper_large_kernelILj128ELj16ELb0EdEEviiPKiS2_PKT2_iPS3_iPiS2_S7_21rocsparse_index_base_20rocsparse_diag_type_20rocsparse_direction_.uses_vcc, 1
	.set _ZN9rocsparseL24bsrsm_upper_large_kernelILj128ELj16ELb0EdEEviiPKiS2_PKT2_iPS3_iPiS2_S7_21rocsparse_index_base_20rocsparse_diag_type_20rocsparse_direction_.uses_flat_scratch, 0
	.set _ZN9rocsparseL24bsrsm_upper_large_kernelILj128ELj16ELb0EdEEviiPKiS2_PKT2_iPS3_iPiS2_S7_21rocsparse_index_base_20rocsparse_diag_type_20rocsparse_direction_.has_dyn_sized_stack, 0
	.set _ZN9rocsparseL24bsrsm_upper_large_kernelILj128ELj16ELb0EdEEviiPKiS2_PKT2_iPS3_iPiS2_S7_21rocsparse_index_base_20rocsparse_diag_type_20rocsparse_direction_.has_recursion, 0
	.set _ZN9rocsparseL24bsrsm_upper_large_kernelILj128ELj16ELb0EdEEviiPKiS2_PKT2_iPS3_iPiS2_S7_21rocsparse_index_base_20rocsparse_diag_type_20rocsparse_direction_.has_indirect_call, 0
	.section	.AMDGPU.csdata,"",@progbits
; Kernel info:
; codeLenInByte = 1496
; TotalNumSgprs: 46
; NumVgprs: 20
; ScratchSize: 0
; MemoryBound: 0
; FloatMode: 240
; IeeeMode: 1
; LDSByteSize: 0 bytes/workgroup (compile time only)
; SGPRBlocks: 5
; VGPRBlocks: 4
; NumSGPRsForWavesPerEU: 46
; NumVGPRsForWavesPerEU: 20
; Occupancy: 10
; WaveLimiterHint : 1
; COMPUTE_PGM_RSRC2:SCRATCH_EN: 0
; COMPUTE_PGM_RSRC2:USER_SGPR: 6
; COMPUTE_PGM_RSRC2:TRAP_HANDLER: 0
; COMPUTE_PGM_RSRC2:TGID_X_EN: 1
; COMPUTE_PGM_RSRC2:TGID_Y_EN: 0
; COMPUTE_PGM_RSRC2:TGID_Z_EN: 0
; COMPUTE_PGM_RSRC2:TIDIG_COMP_CNT: 0
	.section	.text._ZN9rocsparseL24bsrsm_lower_large_kernelILj128ELj16ELb0EdEEviiPKiS2_PKT2_iPS3_iPiS2_S7_21rocsparse_index_base_20rocsparse_diag_type_20rocsparse_direction_,"axG",@progbits,_ZN9rocsparseL24bsrsm_lower_large_kernelILj128ELj16ELb0EdEEviiPKiS2_PKT2_iPS3_iPiS2_S7_21rocsparse_index_base_20rocsparse_diag_type_20rocsparse_direction_,comdat
	.globl	_ZN9rocsparseL24bsrsm_lower_large_kernelILj128ELj16ELb0EdEEviiPKiS2_PKT2_iPS3_iPiS2_S7_21rocsparse_index_base_20rocsparse_diag_type_20rocsparse_direction_ ; -- Begin function _ZN9rocsparseL24bsrsm_lower_large_kernelILj128ELj16ELb0EdEEviiPKiS2_PKT2_iPS3_iPiS2_S7_21rocsparse_index_base_20rocsparse_diag_type_20rocsparse_direction_
	.p2align	8
	.type	_ZN9rocsparseL24bsrsm_lower_large_kernelILj128ELj16ELb0EdEEviiPKiS2_PKT2_iPS3_iPiS2_S7_21rocsparse_index_base_20rocsparse_diag_type_20rocsparse_direction_,@function
_ZN9rocsparseL24bsrsm_lower_large_kernelILj128ELj16ELb0EdEEviiPKiS2_PKT2_iPS3_iPiS2_S7_21rocsparse_index_base_20rocsparse_diag_type_20rocsparse_direction_: ; @_ZN9rocsparseL24bsrsm_lower_large_kernelILj128ELj16ELb0EdEEviiPKiS2_PKT2_iPS3_iPiS2_S7_21rocsparse_index_base_20rocsparse_diag_type_20rocsparse_direction_
; %bb.0:
	s_load_dwordx2 s[24:25], s[4:5], 0x0
	s_load_dwordx4 s[16:19], s[4:5], 0x8
	s_load_dwordx4 s[8:11], s[4:5], 0x38
	s_load_dwordx2 s[20:21], s[4:5], 0x48
	v_lshrrev_b32_e32 v8, 3, v0
	v_and_b32_e32 v7, 7, v0
	s_waitcnt lgkmcnt(0)
	v_cvt_f32_u32_e32 v1, s24
	s_sub_i32 s0, 0, s24
	v_rcp_iflag_f32_e32 v1, v1
	v_mul_f32_e32 v1, 0x4f7ffffe, v1
	v_cvt_u32_f32_e32 v1, v1
	v_readfirstlane_b32 s1, v1
	s_mul_i32 s0, s0, s1
	s_mul_hi_u32 s0, s1, s0
	s_add_i32 s1, s1, s0
	s_mul_hi_u32 s0, s6, s1
	s_mul_i32 s1, s0, s24
	s_sub_i32 s1, s6, s1
	s_add_i32 s2, s0, 1
	s_sub_i32 s3, s1, s24
	s_cmp_ge_u32 s1, s24
	s_cselect_b32 s0, s2, s0
	s_cselect_b32 s1, s3, s1
	s_add_i32 s2, s0, 1
	s_cmp_ge_u32 s1, s24
	s_cselect_b32 s26, s2, s0
	s_mul_i32 s33, s26, s24
	s_sub_i32 s0, s6, s33
	s_ashr_i32 s1, s0, 31
	s_lshl_b64 s[0:1], s[0:1], 2
	s_add_u32 s0, s10, s0
	s_addc_u32 s1, s11, s1
	s_load_dword s6, s[0:1], 0x0
	s_load_dwordx2 s[10:11], s[4:5], 0x18
	s_load_dword s34, s[4:5], 0x20
	s_load_dwordx2 s[22:23], s[4:5], 0x28
	s_load_dword s35, s[4:5], 0x30
	s_load_dwordx4 s[12:15], s[4:5], 0x50
	s_waitcnt lgkmcnt(0)
	s_ashr_i32 s7, s6, 31
	s_lshl_b64 s[0:1], s[6:7], 2
	s_add_u32 s0, s16, s0
	s_addc_u32 s1, s17, s1
	s_load_dwordx2 s[2:3], s[0:1], 0x0
	s_lshl_b32 s36, s26, 4
	v_or_b32_e32 v1, s36, v8
	s_mul_i32 s7, s6, s34
	v_cmp_gt_i32_e32 vcc, s25, v1
	s_waitcnt lgkmcnt(0)
	s_sub_i32 s4, s2, s12
	s_cmp_ge_i32 s2, s3
	s_mul_i32 s37, s34, s34
	v_cmp_eq_u32_e64 s[0:1], 0, v0
	s_cbranch_scc1 .LBB25_17
; %bb.1:
	s_mul_i32 s5, s34, s4
	v_add_u32_e32 v2, s5, v7
	v_mul_lo_u32 v9, s34, v2
	s_sub_i32 s15, s3, s12
	v_cmp_gt_i32_e64 s[2:3], s34, v7
	s_cmp_lg_u32 s14, 0
	s_cselect_b64 s[16:17], -1, 0
	s_and_b64 s[2:3], vcc, s[2:3]
	s_mul_i32 s38, s35, s34
	s_lshl_b32 s39, s34, 3
	v_mov_b32_e32 v10, 0
	s_branch .LBB25_3
.LBB25_2:                               ;   in Loop: Header=BB25_3 Depth=1
                                        ; implicit-def: $vgpr9
	s_and_b64 vcc, exec, s[26:27]
	s_cbranch_vccnz .LBB25_18
.LBB25_3:                               ; =>This Loop Header: Depth=1
                                        ;     Child Loop BB25_6 Depth 2
                                        ;     Child Loop BB25_10 Depth 2
                                        ;       Child Loop BB25_12 Depth 3
	s_ashr_i32 s5, s4, 31
	s_lshl_b64 s[26:27], s[4:5], 2
	s_add_u32 s26, s18, s26
	s_addc_u32 s27, s19, s27
	global_load_dword v2, v10, s[26:27]
	s_mov_b64 s[26:27], -1
	s_waitcnt vmcnt(0)
	v_readfirstlane_b32 s5, v2
	s_sub_i32 s5, s5, s12
	s_cmp_ge_i32 s5, s6
	s_cbranch_scc1 .LBB25_2
; %bb.4:                                ;   in Loop: Header=BB25_3 Depth=1
	s_and_saveexec_b64 s[26:27], s[0:1]
	s_cbranch_execz .LBB25_7
; %bb.5:                                ;   in Loop: Header=BB25_3 Depth=1
	s_add_i32 s28, s5, s33
	s_ashr_i32 s29, s28, 31
	s_lshl_b64 s[28:29], s[28:29], 2
	s_add_u32 s28, s8, s28
	s_addc_u32 s29, s9, s29
	global_load_dword v2, v10, s[28:29] glc
	s_waitcnt vmcnt(0)
	v_cmp_ne_u32_e32 vcc, 0, v2
	s_cbranch_vccnz .LBB25_7
.LBB25_6:                               ;   Parent Loop BB25_3 Depth=1
                                        ; =>  This Inner Loop Header: Depth=2
	global_load_dword v2, v10, s[28:29] glc
	s_waitcnt vmcnt(0)
	v_cmp_eq_u32_e32 vcc, 0, v2
	s_cbranch_vccnz .LBB25_6
.LBB25_7:                               ;   in Loop: Header=BB25_3 Depth=1
	s_or_b64 exec, exec, s[26:27]
	buffer_wbinvl1_vol
	s_barrier
	s_and_saveexec_b64 s[26:27], s[2:3]
	s_cbranch_execz .LBB25_16
; %bb.8:                                ;   in Loop: Header=BB25_3 Depth=1
	s_mul_i32 s28, s38, s5
	s_mul_i32 s40, s4, s34
	v_add_u32_e32 v11, s28, v1
	s_mov_b64 s[28:29], 0
	v_mov_b32_e32 v12, v9
	v_mov_b32_e32 v13, v7
	s_branch .LBB25_10
.LBB25_9:                               ;   in Loop: Header=BB25_10 Depth=2
	v_add_u32_e32 v4, s7, v13
	v_mad_u64_u32 v[4:5], s[30:31], v4, s35, v[1:2]
	v_mov_b32_e32 v6, s23
	v_add_u32_e32 v13, 8, v13
	v_ashrrev_i32_e32 v5, 31, v4
	v_lshlrev_b64 v[4:5], 3, v[4:5]
	v_add_u32_e32 v12, s39, v12
	v_add_co_u32_e32 v4, vcc, s22, v4
	v_addc_co_u32_e32 v5, vcc, v6, v5, vcc
	global_load_dwordx2 v[14:15], v[4:5], off
	v_cmp_le_i32_e32 vcc, s34, v13
	s_or_b64 s[28:29], vcc, s[28:29]
	s_waitcnt vmcnt(0)
	v_add_f64 v[2:3], v[14:15], -v[2:3]
	global_store_dwordx2 v[4:5], v[2:3], off
	s_andn2_b64 exec, exec, s[28:29]
	s_cbranch_execz .LBB25_16
.LBB25_10:                              ;   Parent Loop BB25_3 Depth=1
                                        ; =>  This Loop Header: Depth=2
                                        ;       Child Loop BB25_12 Depth 3
	v_mov_b32_e32 v2, 0
	v_mov_b32_e32 v3, 0
	s_mov_b32 s41, 0
	v_mov_b32_e32 v4, v11
	s_branch .LBB25_12
.LBB25_11:                              ;   in Loop: Header=BB25_12 Depth=3
	v_ashrrev_i32_e32 v6, 31, v5
	v_lshlrev_b64 v[5:6], 3, v[5:6]
	v_mov_b32_e32 v14, s11
	v_add_co_u32_e32 v5, vcc, s10, v5
	v_addc_co_u32_e32 v6, vcc, v14, v6, vcc
	global_load_dwordx2 v[14:15], v[5:6], off
	v_ashrrev_i32_e32 v5, 31, v4
	v_lshlrev_b64 v[5:6], 3, v[4:5]
	v_mov_b32_e32 v16, s23
	v_add_co_u32_e32 v5, vcc, s22, v5
	v_addc_co_u32_e32 v6, vcc, v16, v6, vcc
	global_load_dwordx2 v[5:6], v[5:6], off
	s_add_i32 s41, s41, 1
	s_cmp_eq_u32 s34, s41
	v_add_u32_e32 v4, s35, v4
	s_waitcnt vmcnt(0)
	v_fma_f64 v[2:3], v[14:15], v[5:6], v[2:3]
	s_cbranch_scc1 .LBB25_9
.LBB25_12:                              ;   Parent Loop BB25_3 Depth=1
                                        ;     Parent Loop BB25_10 Depth=2
                                        ; =>    This Inner Loop Header: Depth=3
	s_and_b64 vcc, exec, s[16:17]
	s_cbranch_vccz .LBB25_14
; %bb.13:                               ;   in Loop: Header=BB25_12 Depth=3
	s_add_i32 s30, s41, s40
	s_mul_i32 s30, s30, s34
	v_add_u32_e32 v5, s30, v13
	s_cbranch_execnz .LBB25_11
	s_branch .LBB25_15
.LBB25_14:                              ;   in Loop: Header=BB25_12 Depth=3
                                        ; implicit-def: $vgpr5
.LBB25_15:                              ;   in Loop: Header=BB25_12 Depth=3
	v_add_u32_e32 v5, s41, v12
	s_branch .LBB25_11
.LBB25_16:                              ;   in Loop: Header=BB25_3 Depth=1
	s_or_b64 exec, exec, s[26:27]
	s_add_i32 s4, s4, 1
	s_cmp_ge_i32 s4, s15
	v_add_u32_e32 v9, s37, v9
	s_cselect_b64 s[26:27], -1, 0
	s_and_b64 vcc, exec, s[26:27]
	s_cbranch_vccz .LBB25_3
	s_branch .LBB25_18
.LBB25_17:
	s_mov_b32 s5, s24
.LBB25_18:
	s_cmp_lt_i32 s6, s24
	s_cselect_b64 s[2:3], -1, 0
	s_cmp_eq_u32 s6, s5
	s_cselect_b64 s[0:1], -1, 0
	v_cmp_gt_i32_e32 vcc, s25, v1
	s_and_b64 s[0:1], vcc, s[0:1]
	s_cmp_gt_i32 s34, 0
	s_cselect_b64 s[16:17], -1, 0
	s_and_b64 s[0:1], s[0:1], s[16:17]
	s_mov_b32 s28, 0
	s_and_b64 s[18:19], s[0:1], s[2:3]
	s_mov_b64 s[0:1], 0
	s_and_saveexec_b64 s[16:17], s[18:19]
	s_cbranch_execz .LBB25_33
; %bb.19:
	v_add_u32_e32 v2, s7, v7
	v_mul_lo_u32 v2, s35, v2
	s_cmp_eq_u32 s13, 0
	s_cselect_b64 s[0:1], -1, 0
	s_cmp_lg_u32 s14, 0
	v_add_u32_e32 v2, s35, v2
	v_add3_u32 v8, v8, v2, s36
	v_cndmask_b32_e64 v2, 0, 1, s[0:1]
	s_cselect_b64 s[14:15], -1, 0
	v_add_u32_e32 v9, 1, v7
	s_mul_i32 s13, s4, s34
	s_lshl_b32 s29, s35, 3
	s_mul_i32 s30, s4, s37
	s_add_i32 s31, s34, 1
	s_mov_b64 s[4:5], 0
	v_cmp_ne_u32_e64 s[0:1], 1, v2
	v_mov_b32_e32 v10, 0
	v_mov_b32_e32 v11, s23
	s_branch .LBB25_21
.LBB25_20:                              ;   in Loop: Header=BB25_21 Depth=1
	s_or_b64 exec, exec, s[18:19]
	s_add_i32 s28, s28, 1
	s_add_i32 s30, s30, s31
	s_cmp_eq_u32 s28, s34
	v_add_u32_e32 v8, s35, v8
	s_cbranch_scc1 .LBB25_32
.LBB25_21:                              ; =>This Loop Header: Depth=1
                                        ;     Child Loop BB25_28 Depth 2
	v_mov_b32_e32 v4, 0
	v_mov_b32_e32 v5, 0x3ff00000
	s_and_b64 vcc, exec, s[0:1]
	s_cbranch_vccnz .LBB25_23
; %bb.22:                               ;   in Loop: Header=BB25_21 Depth=1
	s_add_i32 s18, s28, s13
	s_mul_i32 s18, s18, s34
	s_add_i32 s18, s18, s28
	s_ashr_i32 s19, s18, 31
	s_lshl_b64 s[18:19], s[18:19], 3
	s_add_u32 s18, s10, s18
	s_addc_u32 s19, s11, s19
	global_load_dwordx2 v[4:5], v10, s[18:19]
.LBB25_23:                              ;   in Loop: Header=BB25_21 Depth=1
	s_add_i32 s18, s28, s7
	s_mul_i32 s18, s18, s35
	s_waitcnt vmcnt(0)
	v_add_u32_e32 v2, s18, v1
	v_ashrrev_i32_e32 v3, 31, v2
	v_lshlrev_b64 v[2:3], 3, v[2:3]
	v_add_co_u32_e32 v6, vcc, s22, v2
	v_addc_co_u32_e32 v7, vcc, v11, v3, vcc
	global_load_dwordx2 v[2:3], v[6:7], off
	s_waitcnt vmcnt(1)
	v_cmp_eq_f64_e32 vcc, 0, v[4:5]
	s_cbranch_vccnz .LBB25_25
; %bb.24:                               ;   in Loop: Header=BB25_21 Depth=1
	s_waitcnt vmcnt(0)
	v_div_scale_f64 v[12:13], s[18:19], v[4:5], v[4:5], v[2:3]
	v_div_scale_f64 v[18:19], vcc, v[2:3], v[4:5], v[2:3]
	v_rcp_f64_e32 v[14:15], v[12:13]
	v_fma_f64 v[16:17], -v[12:13], v[14:15], 1.0
	v_fma_f64 v[14:15], v[14:15], v[16:17], v[14:15]
	v_fma_f64 v[16:17], -v[12:13], v[14:15], 1.0
	v_fma_f64 v[14:15], v[14:15], v[16:17], v[14:15]
	v_mul_f64 v[16:17], v[18:19], v[14:15]
	v_fma_f64 v[12:13], -v[12:13], v[16:17], v[18:19]
	v_div_fmas_f64 v[12:13], v[12:13], v[14:15], v[16:17]
	v_div_fixup_f64 v[2:3], v[12:13], v[4:5], v[2:3]
	global_store_dwordx2 v[6:7], v[2:3], off
	v_add_u32_e32 v7, s28, v9
	v_cmp_gt_i32_e32 vcc, s34, v7
	s_and_saveexec_b64 s[18:19], vcc
	s_cbranch_execz .LBB25_20
	s_branch .LBB25_26
.LBB25_25:                              ;   in Loop: Header=BB25_21 Depth=1
	s_mov_b64 s[4:5], -1
	v_add_u32_e32 v7, s28, v9
	v_cmp_gt_i32_e32 vcc, s34, v7
	s_and_saveexec_b64 s[18:19], vcc
	s_cbranch_execz .LBB25_20
.LBB25_26:                              ;   in Loop: Header=BB25_21 Depth=1
	s_mov_b64 s[24:25], 0
	v_mov_b32_e32 v4, v8
	v_mov_b32_e32 v12, v9
	s_branch .LBB25_28
.LBB25_27:                              ;   in Loop: Header=BB25_28 Depth=2
	v_ashrrev_i32_e32 v6, 31, v5
	v_lshlrev_b64 v[5:6], 3, v[5:6]
	v_mov_b32_e32 v13, s11
	v_add_co_u32_e32 v5, vcc, s10, v5
	v_addc_co_u32_e32 v6, vcc, v13, v6, vcc
	global_load_dwordx2 v[13:14], v[5:6], off
	v_ashrrev_i32_e32 v5, 31, v4
	v_lshlrev_b64 v[5:6], 3, v[4:5]
	v_mov_b32_e32 v15, s23
	v_add_co_u32_e32 v5, vcc, s22, v5
	v_addc_co_u32_e32 v6, vcc, v15, v6, vcc
	global_load_dwordx2 v[15:16], v[5:6], off
	v_add_u32_e32 v12, 8, v12
	v_add_u32_e32 v7, 8, v7
	;; [unrolled: 1-line block ×3, first 2 shown]
	s_waitcnt vmcnt(0)
	v_fma_f64 v[13:14], -v[2:3], v[13:14], v[15:16]
	v_add_u32_e32 v15, s28, v12
	v_cmp_le_i32_e32 vcc, s34, v15
	s_or_b64 s[24:25], vcc, s[24:25]
	global_store_dwordx2 v[5:6], v[13:14], off
	s_andn2_b64 exec, exec, s[24:25]
	s_cbranch_execz .LBB25_20
.LBB25_28:                              ;   Parent Loop BB25_21 Depth=1
                                        ; =>  This Inner Loop Header: Depth=2
	s_and_b64 vcc, exec, s[14:15]
	s_cbranch_vccz .LBB25_30
; %bb.29:                               ;   in Loop: Header=BB25_28 Depth=2
	v_add_u32_e32 v5, s30, v12
	s_cbranch_execnz .LBB25_27
	s_branch .LBB25_31
.LBB25_30:                              ;   in Loop: Header=BB25_28 Depth=2
                                        ; implicit-def: $vgpr5
.LBB25_31:                              ;   in Loop: Header=BB25_28 Depth=2
	v_add_u32_e32 v5, s13, v7
	v_mul_lo_u32 v5, v5, s34
	v_add_u32_e32 v5, s28, v5
	s_branch .LBB25_27
.LBB25_32:
	s_and_b64 s[0:1], s[4:5], exec
.LBB25_33:
	s_or_b64 exec, exec, s[16:17]
	v_cmp_eq_u32_e32 vcc, 0, v0
	s_and_b64 s[2:3], vcc, s[2:3]
	s_waitcnt vmcnt(0)
	buffer_wbinvl1_vol
	s_barrier
	s_and_saveexec_b64 s[4:5], s[2:3]
	s_cbranch_execz .LBB25_37
; %bb.34:
	s_add_i32 s2, s6, s33
	s_ashr_i32 s3, s2, 31
	s_lshl_b64 s[2:3], s[2:3], 2
	s_add_u32 s2, s8, s2
	s_addc_u32 s3, s9, s3
	v_mov_b32_e32 v0, 0
	v_mov_b32_e32 v1, 1
	global_store_dword v0, v1, s[2:3]
	s_and_b64 exec, exec, s[0:1]
	s_cbranch_execz .LBB25_37
; %bb.35:
	v_mbcnt_lo_u32_b32 v0, exec_lo, 0
	v_mbcnt_hi_u32_b32 v0, exec_hi, v0
	v_cmp_eq_u32_e32 vcc, 0, v0
	s_and_b64 exec, exec, vcc
	s_cbranch_execz .LBB25_37
; %bb.36:
	s_add_i32 s0, s6, s12
	v_mov_b32_e32 v0, 0
	v_mov_b32_e32 v1, s0
	global_atomic_smin v0, v1, s[20:21]
.LBB25_37:
	s_endpgm
	.section	.rodata,"a",@progbits
	.p2align	6, 0x0
	.amdhsa_kernel _ZN9rocsparseL24bsrsm_lower_large_kernelILj128ELj16ELb0EdEEviiPKiS2_PKT2_iPS3_iPiS2_S7_21rocsparse_index_base_20rocsparse_diag_type_20rocsparse_direction_
		.amdhsa_group_segment_fixed_size 0
		.amdhsa_private_segment_fixed_size 0
		.amdhsa_kernarg_size 92
		.amdhsa_user_sgpr_count 6
		.amdhsa_user_sgpr_private_segment_buffer 1
		.amdhsa_user_sgpr_dispatch_ptr 0
		.amdhsa_user_sgpr_queue_ptr 0
		.amdhsa_user_sgpr_kernarg_segment_ptr 1
		.amdhsa_user_sgpr_dispatch_id 0
		.amdhsa_user_sgpr_flat_scratch_init 0
		.amdhsa_user_sgpr_private_segment_size 0
		.amdhsa_uses_dynamic_stack 0
		.amdhsa_system_sgpr_private_segment_wavefront_offset 0
		.amdhsa_system_sgpr_workgroup_id_x 1
		.amdhsa_system_sgpr_workgroup_id_y 0
		.amdhsa_system_sgpr_workgroup_id_z 0
		.amdhsa_system_sgpr_workgroup_info 0
		.amdhsa_system_vgpr_workitem_id 0
		.amdhsa_next_free_vgpr 20
		.amdhsa_next_free_sgpr 42
		.amdhsa_reserve_vcc 1
		.amdhsa_reserve_flat_scratch 0
		.amdhsa_float_round_mode_32 0
		.amdhsa_float_round_mode_16_64 0
		.amdhsa_float_denorm_mode_32 3
		.amdhsa_float_denorm_mode_16_64 3
		.amdhsa_dx10_clamp 1
		.amdhsa_ieee_mode 1
		.amdhsa_fp16_overflow 0
		.amdhsa_exception_fp_ieee_invalid_op 0
		.amdhsa_exception_fp_denorm_src 0
		.amdhsa_exception_fp_ieee_div_zero 0
		.amdhsa_exception_fp_ieee_overflow 0
		.amdhsa_exception_fp_ieee_underflow 0
		.amdhsa_exception_fp_ieee_inexact 0
		.amdhsa_exception_int_div_zero 0
	.end_amdhsa_kernel
	.section	.text._ZN9rocsparseL24bsrsm_lower_large_kernelILj128ELj16ELb0EdEEviiPKiS2_PKT2_iPS3_iPiS2_S7_21rocsparse_index_base_20rocsparse_diag_type_20rocsparse_direction_,"axG",@progbits,_ZN9rocsparseL24bsrsm_lower_large_kernelILj128ELj16ELb0EdEEviiPKiS2_PKT2_iPS3_iPiS2_S7_21rocsparse_index_base_20rocsparse_diag_type_20rocsparse_direction_,comdat
.Lfunc_end25:
	.size	_ZN9rocsparseL24bsrsm_lower_large_kernelILj128ELj16ELb0EdEEviiPKiS2_PKT2_iPS3_iPiS2_S7_21rocsparse_index_base_20rocsparse_diag_type_20rocsparse_direction_, .Lfunc_end25-_ZN9rocsparseL24bsrsm_lower_large_kernelILj128ELj16ELb0EdEEviiPKiS2_PKT2_iPS3_iPiS2_S7_21rocsparse_index_base_20rocsparse_diag_type_20rocsparse_direction_
                                        ; -- End function
	.set _ZN9rocsparseL24bsrsm_lower_large_kernelILj128ELj16ELb0EdEEviiPKiS2_PKT2_iPS3_iPiS2_S7_21rocsparse_index_base_20rocsparse_diag_type_20rocsparse_direction_.num_vgpr, 20
	.set _ZN9rocsparseL24bsrsm_lower_large_kernelILj128ELj16ELb0EdEEviiPKiS2_PKT2_iPS3_iPiS2_S7_21rocsparse_index_base_20rocsparse_diag_type_20rocsparse_direction_.num_agpr, 0
	.set _ZN9rocsparseL24bsrsm_lower_large_kernelILj128ELj16ELb0EdEEviiPKiS2_PKT2_iPS3_iPiS2_S7_21rocsparse_index_base_20rocsparse_diag_type_20rocsparse_direction_.numbered_sgpr, 42
	.set _ZN9rocsparseL24bsrsm_lower_large_kernelILj128ELj16ELb0EdEEviiPKiS2_PKT2_iPS3_iPiS2_S7_21rocsparse_index_base_20rocsparse_diag_type_20rocsparse_direction_.num_named_barrier, 0
	.set _ZN9rocsparseL24bsrsm_lower_large_kernelILj128ELj16ELb0EdEEviiPKiS2_PKT2_iPS3_iPiS2_S7_21rocsparse_index_base_20rocsparse_diag_type_20rocsparse_direction_.private_seg_size, 0
	.set _ZN9rocsparseL24bsrsm_lower_large_kernelILj128ELj16ELb0EdEEviiPKiS2_PKT2_iPS3_iPiS2_S7_21rocsparse_index_base_20rocsparse_diag_type_20rocsparse_direction_.uses_vcc, 1
	.set _ZN9rocsparseL24bsrsm_lower_large_kernelILj128ELj16ELb0EdEEviiPKiS2_PKT2_iPS3_iPiS2_S7_21rocsparse_index_base_20rocsparse_diag_type_20rocsparse_direction_.uses_flat_scratch, 0
	.set _ZN9rocsparseL24bsrsm_lower_large_kernelILj128ELj16ELb0EdEEviiPKiS2_PKT2_iPS3_iPiS2_S7_21rocsparse_index_base_20rocsparse_diag_type_20rocsparse_direction_.has_dyn_sized_stack, 0
	.set _ZN9rocsparseL24bsrsm_lower_large_kernelILj128ELj16ELb0EdEEviiPKiS2_PKT2_iPS3_iPiS2_S7_21rocsparse_index_base_20rocsparse_diag_type_20rocsparse_direction_.has_recursion, 0
	.set _ZN9rocsparseL24bsrsm_lower_large_kernelILj128ELj16ELb0EdEEviiPKiS2_PKT2_iPS3_iPiS2_S7_21rocsparse_index_base_20rocsparse_diag_type_20rocsparse_direction_.has_indirect_call, 0
	.section	.AMDGPU.csdata,"",@progbits
; Kernel info:
; codeLenInByte = 1504
; TotalNumSgprs: 46
; NumVgprs: 20
; ScratchSize: 0
; MemoryBound: 0
; FloatMode: 240
; IeeeMode: 1
; LDSByteSize: 0 bytes/workgroup (compile time only)
; SGPRBlocks: 5
; VGPRBlocks: 4
; NumSGPRsForWavesPerEU: 46
; NumVGPRsForWavesPerEU: 20
; Occupancy: 10
; WaveLimiterHint : 1
; COMPUTE_PGM_RSRC2:SCRATCH_EN: 0
; COMPUTE_PGM_RSRC2:USER_SGPR: 6
; COMPUTE_PGM_RSRC2:TRAP_HANDLER: 0
; COMPUTE_PGM_RSRC2:TGID_X_EN: 1
; COMPUTE_PGM_RSRC2:TGID_Y_EN: 0
; COMPUTE_PGM_RSRC2:TGID_Z_EN: 0
; COMPUTE_PGM_RSRC2:TIDIG_COMP_CNT: 0
	.section	.text._ZN9rocsparseL24bsrsm_upper_large_kernelILj256ELj16ELb0EdEEviiPKiS2_PKT2_iPS3_iPiS2_S7_21rocsparse_index_base_20rocsparse_diag_type_20rocsparse_direction_,"axG",@progbits,_ZN9rocsparseL24bsrsm_upper_large_kernelILj256ELj16ELb0EdEEviiPKiS2_PKT2_iPS3_iPiS2_S7_21rocsparse_index_base_20rocsparse_diag_type_20rocsparse_direction_,comdat
	.globl	_ZN9rocsparseL24bsrsm_upper_large_kernelILj256ELj16ELb0EdEEviiPKiS2_PKT2_iPS3_iPiS2_S7_21rocsparse_index_base_20rocsparse_diag_type_20rocsparse_direction_ ; -- Begin function _ZN9rocsparseL24bsrsm_upper_large_kernelILj256ELj16ELb0EdEEviiPKiS2_PKT2_iPS3_iPiS2_S7_21rocsparse_index_base_20rocsparse_diag_type_20rocsparse_direction_
	.p2align	8
	.type	_ZN9rocsparseL24bsrsm_upper_large_kernelILj256ELj16ELb0EdEEviiPKiS2_PKT2_iPS3_iPiS2_S7_21rocsparse_index_base_20rocsparse_diag_type_20rocsparse_direction_,@function
_ZN9rocsparseL24bsrsm_upper_large_kernelILj256ELj16ELb0EdEEviiPKiS2_PKT2_iPS3_iPiS2_S7_21rocsparse_index_base_20rocsparse_diag_type_20rocsparse_direction_: ; @_ZN9rocsparseL24bsrsm_upper_large_kernelILj256ELj16ELb0EdEEviiPKiS2_PKT2_iPS3_iPiS2_S7_21rocsparse_index_base_20rocsparse_diag_type_20rocsparse_direction_
; %bb.0:
	s_load_dwordx2 s[24:25], s[4:5], 0x0
	s_load_dwordx4 s[16:19], s[4:5], 0x8
	s_load_dwordx4 s[8:11], s[4:5], 0x38
	s_load_dwordx2 s[20:21], s[4:5], 0x48
	v_lshrrev_b32_e32 v7, 4, v0
	v_and_b32_e32 v8, 15, v0
	s_waitcnt lgkmcnt(0)
	v_cvt_f32_u32_e32 v1, s24
	s_sub_i32 s0, 0, s24
	v_rcp_iflag_f32_e32 v1, v1
	v_mul_f32_e32 v1, 0x4f7ffffe, v1
	v_cvt_u32_f32_e32 v1, v1
	v_readfirstlane_b32 s1, v1
	s_mul_i32 s0, s0, s1
	s_mul_hi_u32 s0, s1, s0
	s_add_i32 s1, s1, s0
	s_mul_hi_u32 s0, s6, s1
	s_mul_i32 s1, s0, s24
	s_sub_i32 s1, s6, s1
	s_add_i32 s2, s0, 1
	s_sub_i32 s3, s1, s24
	s_cmp_ge_u32 s1, s24
	s_cselect_b32 s0, s2, s0
	s_cselect_b32 s1, s3, s1
	s_add_i32 s2, s0, 1
	s_cmp_ge_u32 s1, s24
	s_cselect_b32 s26, s2, s0
	s_mul_i32 s33, s26, s24
	s_sub_i32 s0, s6, s33
	s_ashr_i32 s1, s0, 31
	s_lshl_b64 s[0:1], s[0:1], 2
	s_add_u32 s0, s10, s0
	s_addc_u32 s1, s11, s1
	s_load_dword s6, s[0:1], 0x0
	s_load_dwordx2 s[10:11], s[4:5], 0x18
	s_load_dword s34, s[4:5], 0x20
	s_load_dwordx2 s[22:23], s[4:5], 0x28
	s_load_dword s35, s[4:5], 0x30
	s_load_dwordx4 s[12:15], s[4:5], 0x50
	s_waitcnt lgkmcnt(0)
	s_ashr_i32 s7, s6, 31
	s_lshl_b64 s[0:1], s[6:7], 2
	s_add_u32 s0, s16, s0
	s_addc_u32 s1, s17, s1
	s_load_dwordx2 s[2:3], s[0:1], 0x0
	s_lshl_b32 s36, s26, 4
	s_not_b32 s0, s12
	v_or_b32_e32 v1, s36, v7
	v_cmp_gt_i32_e32 vcc, s25, v1
	s_waitcnt lgkmcnt(0)
	s_sub_i32 s15, s2, s12
	s_add_i32 s4, s3, s0
	s_cmp_lt_i32 s4, s15
	s_mul_i32 s7, s6, s34
	v_cmp_eq_u32_e64 s[0:1], 0, v0
	s_cbranch_scc1 .LBB26_17
; %bb.1:
	s_mul_i32 s5, s34, s4
	v_add_u32_e32 v2, s5, v8
	v_mul_lo_u32 v9, s34, v2
	v_cmp_gt_i32_e64 s[2:3], s34, v8
	s_cmp_lg_u32 s14, 0
	s_cselect_b64 s[16:17], -1, 0
	s_and_b64 s[2:3], vcc, s[2:3]
	s_mul_i32 s37, s35, s34
	s_mul_i32 s38, s34, s34
	s_lshl_b32 s39, s34, 4
	v_mov_b32_e32 v10, 0
	s_branch .LBB26_3
.LBB26_2:                               ;   in Loop: Header=BB26_3 Depth=1
                                        ; implicit-def: $vgpr9
	s_and_b64 vcc, exec, s[26:27]
	s_cbranch_vccnz .LBB26_18
.LBB26_3:                               ; =>This Loop Header: Depth=1
                                        ;     Child Loop BB26_6 Depth 2
                                        ;     Child Loop BB26_10 Depth 2
                                        ;       Child Loop BB26_12 Depth 3
	s_ashr_i32 s5, s4, 31
	s_lshl_b64 s[26:27], s[4:5], 2
	s_add_u32 s26, s18, s26
	s_addc_u32 s27, s19, s27
	global_load_dword v2, v10, s[26:27]
	s_mov_b64 s[26:27], -1
	s_waitcnt vmcnt(0)
	v_readfirstlane_b32 s5, v2
	s_sub_i32 s5, s5, s12
	s_cmp_le_i32 s5, s6
	s_cbranch_scc1 .LBB26_2
; %bb.4:                                ;   in Loop: Header=BB26_3 Depth=1
	s_and_saveexec_b64 s[26:27], s[0:1]
	s_cbranch_execz .LBB26_7
; %bb.5:                                ;   in Loop: Header=BB26_3 Depth=1
	s_add_i32 s28, s5, s33
	s_ashr_i32 s29, s28, 31
	s_lshl_b64 s[28:29], s[28:29], 2
	s_add_u32 s28, s8, s28
	s_addc_u32 s29, s9, s29
	global_load_dword v2, v10, s[28:29] glc
	s_waitcnt vmcnt(0)
	v_cmp_ne_u32_e32 vcc, 0, v2
	s_cbranch_vccnz .LBB26_7
.LBB26_6:                               ;   Parent Loop BB26_3 Depth=1
                                        ; =>  This Inner Loop Header: Depth=2
	global_load_dword v2, v10, s[28:29] glc
	s_waitcnt vmcnt(0)
	v_cmp_eq_u32_e32 vcc, 0, v2
	s_cbranch_vccnz .LBB26_6
.LBB26_7:                               ;   in Loop: Header=BB26_3 Depth=1
	s_or_b64 exec, exec, s[26:27]
	buffer_wbinvl1_vol
	s_barrier
	s_and_saveexec_b64 s[26:27], s[2:3]
	s_cbranch_execz .LBB26_16
; %bb.8:                                ;   in Loop: Header=BB26_3 Depth=1
	s_mul_i32 s28, s37, s5
	s_mul_i32 s40, s4, s34
	v_add_u32_e32 v11, s28, v1
	s_mov_b64 s[28:29], 0
	v_mov_b32_e32 v12, v9
	v_mov_b32_e32 v13, v8
	s_branch .LBB26_10
.LBB26_9:                               ;   in Loop: Header=BB26_10 Depth=2
	v_add_u32_e32 v4, s7, v13
	v_mad_u64_u32 v[4:5], s[30:31], v4, s35, v[1:2]
	v_mov_b32_e32 v6, s23
	v_add_u32_e32 v13, 16, v13
	v_ashrrev_i32_e32 v5, 31, v4
	v_lshlrev_b64 v[4:5], 3, v[4:5]
	v_add_u32_e32 v12, s39, v12
	v_add_co_u32_e32 v4, vcc, s22, v4
	v_addc_co_u32_e32 v5, vcc, v6, v5, vcc
	global_load_dwordx2 v[14:15], v[4:5], off
	v_cmp_le_i32_e32 vcc, s34, v13
	s_or_b64 s[28:29], vcc, s[28:29]
	s_waitcnt vmcnt(0)
	v_add_f64 v[2:3], v[14:15], -v[2:3]
	global_store_dwordx2 v[4:5], v[2:3], off
	s_andn2_b64 exec, exec, s[28:29]
	s_cbranch_execz .LBB26_16
.LBB26_10:                              ;   Parent Loop BB26_3 Depth=1
                                        ; =>  This Loop Header: Depth=2
                                        ;       Child Loop BB26_12 Depth 3
	v_mov_b32_e32 v2, 0
	v_mov_b32_e32 v3, 0
	s_mov_b32 s41, 0
	v_mov_b32_e32 v4, v11
	s_branch .LBB26_12
.LBB26_11:                              ;   in Loop: Header=BB26_12 Depth=3
	v_ashrrev_i32_e32 v6, 31, v5
	v_lshlrev_b64 v[5:6], 3, v[5:6]
	v_mov_b32_e32 v14, s11
	v_add_co_u32_e32 v5, vcc, s10, v5
	v_addc_co_u32_e32 v6, vcc, v14, v6, vcc
	global_load_dwordx2 v[14:15], v[5:6], off
	v_ashrrev_i32_e32 v5, 31, v4
	v_lshlrev_b64 v[5:6], 3, v[4:5]
	v_mov_b32_e32 v16, s23
	v_add_co_u32_e32 v5, vcc, s22, v5
	v_addc_co_u32_e32 v6, vcc, v16, v6, vcc
	global_load_dwordx2 v[5:6], v[5:6], off
	s_add_i32 s41, s41, 1
	s_cmp_eq_u32 s34, s41
	v_add_u32_e32 v4, s35, v4
	s_waitcnt vmcnt(0)
	v_fma_f64 v[2:3], v[14:15], v[5:6], v[2:3]
	s_cbranch_scc1 .LBB26_9
.LBB26_12:                              ;   Parent Loop BB26_3 Depth=1
                                        ;     Parent Loop BB26_10 Depth=2
                                        ; =>    This Inner Loop Header: Depth=3
	s_and_b64 vcc, exec, s[16:17]
	s_cbranch_vccz .LBB26_14
; %bb.13:                               ;   in Loop: Header=BB26_12 Depth=3
	s_add_i32 s30, s41, s40
	s_mul_i32 s30, s30, s34
	v_add_u32_e32 v5, s30, v13
	s_cbranch_execnz .LBB26_11
	s_branch .LBB26_15
.LBB26_14:                              ;   in Loop: Header=BB26_12 Depth=3
                                        ; implicit-def: $vgpr5
.LBB26_15:                              ;   in Loop: Header=BB26_12 Depth=3
	v_add_u32_e32 v5, s41, v12
	s_branch .LBB26_11
.LBB26_16:                              ;   in Loop: Header=BB26_3 Depth=1
	s_or_b64 exec, exec, s[26:27]
	s_add_i32 s28, s4, -1
	s_cmp_le_i32 s4, s15
	v_subrev_u32_e32 v9, s38, v9
	s_cselect_b64 s[26:27], -1, 0
	s_mov_b32 s4, s28
	s_and_b64 vcc, exec, s[26:27]
	s_cbranch_vccz .LBB26_3
	s_branch .LBB26_18
.LBB26_17:
	s_mov_b32 s5, s24
.LBB26_18:
	s_cmp_lt_i32 s6, s24
	s_cselect_b64 s[2:3], -1, 0
	s_cmp_eq_u32 s6, s5
	s_cselect_b64 s[0:1], -1, 0
	v_cmp_gt_i32_e32 vcc, s25, v1
	s_and_b64 s[0:1], vcc, s[0:1]
	s_cmp_gt_i32 s34, 0
	s_cselect_b64 s[16:17], -1, 0
	s_and_b64 s[0:1], s[0:1], s[16:17]
	s_and_b64 s[18:19], s[0:1], s[2:3]
	s_mov_b64 s[0:1], 0
	s_and_saveexec_b64 s[16:17], s[18:19]
	s_cbranch_execz .LBB26_35
; %bb.19:
	v_add_u32_e32 v2, s7, v8
	s_cmp_eq_u32 s13, 0
	v_mul_lo_u32 v2, s35, v2
	s_cselect_b64 s[0:1], -1, 0
	s_cmp_lg_u32 s14, 0
	s_cselect_b64 s[14:15], -1, 0
	s_mul_i32 s13, s4, s34
	s_add_i32 s4, s4, 1
	s_mul_i32 s4, s34, s4
	v_add3_u32 v9, v7, v2, s36
	s_add_i32 s4, s4, -1
	v_cndmask_b32_e64 v2, 0, 1, s[0:1]
	s_lshl_b32 s28, s35, 4
	s_mul_i32 s29, s34, s4
	s_mov_b64 s[4:5], 0
	v_cmp_ne_u32_e64 s[0:1], 1, v2
	v_mov_b32_e32 v10, 0
	v_mov_b32_e32 v11, s23
	s_mov_b32 s30, s34
.LBB26_20:                              ; =>This Loop Header: Depth=1
                                        ;     Child Loop BB26_27 Depth 2
	v_mov_b32_e32 v4, 0
	v_mov_b32_e32 v5, 0x3ff00000
	s_and_b64 vcc, exec, s[0:1]
	s_add_i32 s31, s30, -1
	s_cbranch_vccnz .LBB26_22
; %bb.21:                               ;   in Loop: Header=BB26_20 Depth=1
	s_add_i32 s18, s31, s13
	s_mul_i32 s18, s18, s34
	s_add_i32 s18, s18, s31
	s_ashr_i32 s19, s18, 31
	s_lshl_b64 s[18:19], s[18:19], 3
	s_add_u32 s18, s10, s18
	s_addc_u32 s19, s11, s19
	global_load_dwordx2 v[4:5], v10, s[18:19]
.LBB26_22:                              ;   in Loop: Header=BB26_20 Depth=1
	s_add_i32 s18, s31, s7
	s_mul_i32 s18, s18, s35
	s_waitcnt vmcnt(0)
	v_add_u32_e32 v2, s18, v1
	v_ashrrev_i32_e32 v3, 31, v2
	v_lshlrev_b64 v[2:3], 3, v[2:3]
	v_add_co_u32_e32 v6, vcc, s22, v2
	v_addc_co_u32_e32 v7, vcc, v11, v3, vcc
	global_load_dwordx2 v[2:3], v[6:7], off
	s_waitcnt vmcnt(1)
	v_cmp_eq_f64_e32 vcc, 0, v[4:5]
	s_cbranch_vccnz .LBB26_24
; %bb.23:                               ;   in Loop: Header=BB26_20 Depth=1
	s_waitcnt vmcnt(0)
	v_div_scale_f64 v[12:13], s[18:19], v[4:5], v[4:5], v[2:3]
	v_div_scale_f64 v[18:19], vcc, v[2:3], v[4:5], v[2:3]
	v_rcp_f64_e32 v[14:15], v[12:13]
	v_fma_f64 v[16:17], -v[12:13], v[14:15], 1.0
	v_fma_f64 v[14:15], v[14:15], v[16:17], v[14:15]
	v_fma_f64 v[16:17], -v[12:13], v[14:15], 1.0
	v_fma_f64 v[14:15], v[14:15], v[16:17], v[14:15]
	v_mul_f64 v[16:17], v[18:19], v[14:15]
	v_fma_f64 v[12:13], -v[12:13], v[16:17], v[18:19]
	v_div_fmas_f64 v[12:13], v[12:13], v[14:15], v[16:17]
	v_div_fixup_f64 v[2:3], v[12:13], v[4:5], v[2:3]
	global_store_dwordx2 v[6:7], v[2:3], off
	v_cmp_gt_i32_e32 vcc, s31, v8
	s_and_saveexec_b64 s[18:19], vcc
	s_cbranch_execnz .LBB26_25
	s_branch .LBB26_31
.LBB26_24:                              ;   in Loop: Header=BB26_20 Depth=1
	s_mov_b64 s[4:5], -1
	v_cmp_gt_i32_e32 vcc, s31, v8
	s_and_saveexec_b64 s[18:19], vcc
	s_cbranch_execz .LBB26_31
.LBB26_25:                              ;   in Loop: Header=BB26_20 Depth=1
	s_mov_b64 s[24:25], 0
	v_mov_b32_e32 v4, v9
	v_mov_b32_e32 v7, v8
	s_branch .LBB26_27
.LBB26_26:                              ;   in Loop: Header=BB26_27 Depth=2
	v_ashrrev_i32_e32 v6, 31, v5
	v_lshlrev_b64 v[5:6], 3, v[5:6]
	v_mov_b32_e32 v12, s11
	v_add_co_u32_e32 v5, vcc, s10, v5
	v_addc_co_u32_e32 v6, vcc, v12, v6, vcc
	global_load_dwordx2 v[12:13], v[5:6], off
	v_ashrrev_i32_e32 v5, 31, v4
	v_lshlrev_b64 v[5:6], 3, v[4:5]
	v_mov_b32_e32 v14, s23
	v_add_co_u32_e32 v5, vcc, s22, v5
	v_addc_co_u32_e32 v6, vcc, v14, v6, vcc
	global_load_dwordx2 v[14:15], v[5:6], off
	v_add_u32_e32 v7, 16, v7
	v_cmp_le_i32_e32 vcc, s31, v7
	s_or_b64 s[24:25], vcc, s[24:25]
	v_add_u32_e32 v4, s28, v4
	s_waitcnt vmcnt(0)
	v_fma_f64 v[12:13], -v[2:3], v[12:13], v[14:15]
	global_store_dwordx2 v[5:6], v[12:13], off
	s_andn2_b64 exec, exec, s[24:25]
	s_cbranch_execz .LBB26_31
.LBB26_27:                              ;   Parent Loop BB26_20 Depth=1
                                        ; =>  This Inner Loop Header: Depth=2
	s_and_b64 vcc, exec, s[14:15]
	s_cbranch_vccz .LBB26_29
; %bb.28:                               ;   in Loop: Header=BB26_27 Depth=2
	v_add_u32_e32 v5, s29, v7
	s_cbranch_execnz .LBB26_26
	s_branch .LBB26_30
.LBB26_29:                              ;   in Loop: Header=BB26_27 Depth=2
                                        ; implicit-def: $vgpr5
.LBB26_30:                              ;   in Loop: Header=BB26_27 Depth=2
	v_add_u32_e32 v5, s13, v7
	v_mul_lo_u32 v5, v5, s34
	v_add_u32_e32 v5, s31, v5
	s_branch .LBB26_26
.LBB26_31:                              ;   in Loop: Header=BB26_20 Depth=1
	s_or_b64 exec, exec, s[18:19]
; %bb.32:                               ;   in Loop: Header=BB26_20 Depth=1
	s_sub_i32 s29, s29, s34
	s_cmp_lt_i32 s30, 2
	s_cbranch_scc1 .LBB26_34
; %bb.33:                               ;   in Loop: Header=BB26_20 Depth=1
	s_mov_b32 s30, s31
	s_branch .LBB26_20
.LBB26_34:
	s_and_b64 s[0:1], s[4:5], exec
.LBB26_35:
	s_or_b64 exec, exec, s[16:17]
	v_cmp_eq_u32_e32 vcc, 0, v0
	s_and_b64 s[2:3], vcc, s[2:3]
	s_waitcnt vmcnt(0)
	buffer_wbinvl1_vol
	s_barrier
	s_and_saveexec_b64 s[4:5], s[2:3]
	s_cbranch_execz .LBB26_39
; %bb.36:
	s_add_i32 s2, s6, s33
	s_ashr_i32 s3, s2, 31
	s_lshl_b64 s[2:3], s[2:3], 2
	s_add_u32 s2, s8, s2
	s_addc_u32 s3, s9, s3
	v_mov_b32_e32 v0, 0
	v_mov_b32_e32 v1, 1
	global_store_dword v0, v1, s[2:3]
	s_and_b64 exec, exec, s[0:1]
	s_cbranch_execz .LBB26_39
; %bb.37:
	v_mbcnt_lo_u32_b32 v0, exec_lo, 0
	v_mbcnt_hi_u32_b32 v0, exec_hi, v0
	v_cmp_eq_u32_e32 vcc, 0, v0
	s_and_b64 exec, exec, vcc
	s_cbranch_execz .LBB26_39
; %bb.38:
	s_add_i32 s0, s6, s12
	v_mov_b32_e32 v0, 0
	v_mov_b32_e32 v1, s0
	global_atomic_smin v0, v1, s[20:21]
.LBB26_39:
	s_endpgm
	.section	.rodata,"a",@progbits
	.p2align	6, 0x0
	.amdhsa_kernel _ZN9rocsparseL24bsrsm_upper_large_kernelILj256ELj16ELb0EdEEviiPKiS2_PKT2_iPS3_iPiS2_S7_21rocsparse_index_base_20rocsparse_diag_type_20rocsparse_direction_
		.amdhsa_group_segment_fixed_size 0
		.amdhsa_private_segment_fixed_size 0
		.amdhsa_kernarg_size 92
		.amdhsa_user_sgpr_count 6
		.amdhsa_user_sgpr_private_segment_buffer 1
		.amdhsa_user_sgpr_dispatch_ptr 0
		.amdhsa_user_sgpr_queue_ptr 0
		.amdhsa_user_sgpr_kernarg_segment_ptr 1
		.amdhsa_user_sgpr_dispatch_id 0
		.amdhsa_user_sgpr_flat_scratch_init 0
		.amdhsa_user_sgpr_private_segment_size 0
		.amdhsa_uses_dynamic_stack 0
		.amdhsa_system_sgpr_private_segment_wavefront_offset 0
		.amdhsa_system_sgpr_workgroup_id_x 1
		.amdhsa_system_sgpr_workgroup_id_y 0
		.amdhsa_system_sgpr_workgroup_id_z 0
		.amdhsa_system_sgpr_workgroup_info 0
		.amdhsa_system_vgpr_workitem_id 0
		.amdhsa_next_free_vgpr 20
		.amdhsa_next_free_sgpr 42
		.amdhsa_reserve_vcc 1
		.amdhsa_reserve_flat_scratch 0
		.amdhsa_float_round_mode_32 0
		.amdhsa_float_round_mode_16_64 0
		.amdhsa_float_denorm_mode_32 3
		.amdhsa_float_denorm_mode_16_64 3
		.amdhsa_dx10_clamp 1
		.amdhsa_ieee_mode 1
		.amdhsa_fp16_overflow 0
		.amdhsa_exception_fp_ieee_invalid_op 0
		.amdhsa_exception_fp_denorm_src 0
		.amdhsa_exception_fp_ieee_div_zero 0
		.amdhsa_exception_fp_ieee_overflow 0
		.amdhsa_exception_fp_ieee_underflow 0
		.amdhsa_exception_fp_ieee_inexact 0
		.amdhsa_exception_int_div_zero 0
	.end_amdhsa_kernel
	.section	.text._ZN9rocsparseL24bsrsm_upper_large_kernelILj256ELj16ELb0EdEEviiPKiS2_PKT2_iPS3_iPiS2_S7_21rocsparse_index_base_20rocsparse_diag_type_20rocsparse_direction_,"axG",@progbits,_ZN9rocsparseL24bsrsm_upper_large_kernelILj256ELj16ELb0EdEEviiPKiS2_PKT2_iPS3_iPiS2_S7_21rocsparse_index_base_20rocsparse_diag_type_20rocsparse_direction_,comdat
.Lfunc_end26:
	.size	_ZN9rocsparseL24bsrsm_upper_large_kernelILj256ELj16ELb0EdEEviiPKiS2_PKT2_iPS3_iPiS2_S7_21rocsparse_index_base_20rocsparse_diag_type_20rocsparse_direction_, .Lfunc_end26-_ZN9rocsparseL24bsrsm_upper_large_kernelILj256ELj16ELb0EdEEviiPKiS2_PKT2_iPS3_iPiS2_S7_21rocsparse_index_base_20rocsparse_diag_type_20rocsparse_direction_
                                        ; -- End function
	.set _ZN9rocsparseL24bsrsm_upper_large_kernelILj256ELj16ELb0EdEEviiPKiS2_PKT2_iPS3_iPiS2_S7_21rocsparse_index_base_20rocsparse_diag_type_20rocsparse_direction_.num_vgpr, 20
	.set _ZN9rocsparseL24bsrsm_upper_large_kernelILj256ELj16ELb0EdEEviiPKiS2_PKT2_iPS3_iPiS2_S7_21rocsparse_index_base_20rocsparse_diag_type_20rocsparse_direction_.num_agpr, 0
	.set _ZN9rocsparseL24bsrsm_upper_large_kernelILj256ELj16ELb0EdEEviiPKiS2_PKT2_iPS3_iPiS2_S7_21rocsparse_index_base_20rocsparse_diag_type_20rocsparse_direction_.numbered_sgpr, 42
	.set _ZN9rocsparseL24bsrsm_upper_large_kernelILj256ELj16ELb0EdEEviiPKiS2_PKT2_iPS3_iPiS2_S7_21rocsparse_index_base_20rocsparse_diag_type_20rocsparse_direction_.num_named_barrier, 0
	.set _ZN9rocsparseL24bsrsm_upper_large_kernelILj256ELj16ELb0EdEEviiPKiS2_PKT2_iPS3_iPiS2_S7_21rocsparse_index_base_20rocsparse_diag_type_20rocsparse_direction_.private_seg_size, 0
	.set _ZN9rocsparseL24bsrsm_upper_large_kernelILj256ELj16ELb0EdEEviiPKiS2_PKT2_iPS3_iPiS2_S7_21rocsparse_index_base_20rocsparse_diag_type_20rocsparse_direction_.uses_vcc, 1
	.set _ZN9rocsparseL24bsrsm_upper_large_kernelILj256ELj16ELb0EdEEviiPKiS2_PKT2_iPS3_iPiS2_S7_21rocsparse_index_base_20rocsparse_diag_type_20rocsparse_direction_.uses_flat_scratch, 0
	.set _ZN9rocsparseL24bsrsm_upper_large_kernelILj256ELj16ELb0EdEEviiPKiS2_PKT2_iPS3_iPiS2_S7_21rocsparse_index_base_20rocsparse_diag_type_20rocsparse_direction_.has_dyn_sized_stack, 0
	.set _ZN9rocsparseL24bsrsm_upper_large_kernelILj256ELj16ELb0EdEEviiPKiS2_PKT2_iPS3_iPiS2_S7_21rocsparse_index_base_20rocsparse_diag_type_20rocsparse_direction_.has_recursion, 0
	.set _ZN9rocsparseL24bsrsm_upper_large_kernelILj256ELj16ELb0EdEEviiPKiS2_PKT2_iPS3_iPiS2_S7_21rocsparse_index_base_20rocsparse_diag_type_20rocsparse_direction_.has_indirect_call, 0
	.section	.AMDGPU.csdata,"",@progbits
; Kernel info:
; codeLenInByte = 1496
; TotalNumSgprs: 46
; NumVgprs: 20
; ScratchSize: 0
; MemoryBound: 0
; FloatMode: 240
; IeeeMode: 1
; LDSByteSize: 0 bytes/workgroup (compile time only)
; SGPRBlocks: 5
; VGPRBlocks: 4
; NumSGPRsForWavesPerEU: 46
; NumVGPRsForWavesPerEU: 20
; Occupancy: 10
; WaveLimiterHint : 1
; COMPUTE_PGM_RSRC2:SCRATCH_EN: 0
; COMPUTE_PGM_RSRC2:USER_SGPR: 6
; COMPUTE_PGM_RSRC2:TRAP_HANDLER: 0
; COMPUTE_PGM_RSRC2:TGID_X_EN: 1
; COMPUTE_PGM_RSRC2:TGID_Y_EN: 0
; COMPUTE_PGM_RSRC2:TGID_Z_EN: 0
; COMPUTE_PGM_RSRC2:TIDIG_COMP_CNT: 0
	.section	.text._ZN9rocsparseL24bsrsm_lower_large_kernelILj256ELj16ELb0EdEEviiPKiS2_PKT2_iPS3_iPiS2_S7_21rocsparse_index_base_20rocsparse_diag_type_20rocsparse_direction_,"axG",@progbits,_ZN9rocsparseL24bsrsm_lower_large_kernelILj256ELj16ELb0EdEEviiPKiS2_PKT2_iPS3_iPiS2_S7_21rocsparse_index_base_20rocsparse_diag_type_20rocsparse_direction_,comdat
	.globl	_ZN9rocsparseL24bsrsm_lower_large_kernelILj256ELj16ELb0EdEEviiPKiS2_PKT2_iPS3_iPiS2_S7_21rocsparse_index_base_20rocsparse_diag_type_20rocsparse_direction_ ; -- Begin function _ZN9rocsparseL24bsrsm_lower_large_kernelILj256ELj16ELb0EdEEviiPKiS2_PKT2_iPS3_iPiS2_S7_21rocsparse_index_base_20rocsparse_diag_type_20rocsparse_direction_
	.p2align	8
	.type	_ZN9rocsparseL24bsrsm_lower_large_kernelILj256ELj16ELb0EdEEviiPKiS2_PKT2_iPS3_iPiS2_S7_21rocsparse_index_base_20rocsparse_diag_type_20rocsparse_direction_,@function
_ZN9rocsparseL24bsrsm_lower_large_kernelILj256ELj16ELb0EdEEviiPKiS2_PKT2_iPS3_iPiS2_S7_21rocsparse_index_base_20rocsparse_diag_type_20rocsparse_direction_: ; @_ZN9rocsparseL24bsrsm_lower_large_kernelILj256ELj16ELb0EdEEviiPKiS2_PKT2_iPS3_iPiS2_S7_21rocsparse_index_base_20rocsparse_diag_type_20rocsparse_direction_
; %bb.0:
	s_load_dwordx2 s[24:25], s[4:5], 0x0
	s_load_dwordx4 s[16:19], s[4:5], 0x8
	s_load_dwordx4 s[8:11], s[4:5], 0x38
	s_load_dwordx2 s[20:21], s[4:5], 0x48
	v_lshrrev_b32_e32 v8, 4, v0
	v_and_b32_e32 v7, 15, v0
	s_waitcnt lgkmcnt(0)
	v_cvt_f32_u32_e32 v1, s24
	s_sub_i32 s0, 0, s24
	v_rcp_iflag_f32_e32 v1, v1
	v_mul_f32_e32 v1, 0x4f7ffffe, v1
	v_cvt_u32_f32_e32 v1, v1
	v_readfirstlane_b32 s1, v1
	s_mul_i32 s0, s0, s1
	s_mul_hi_u32 s0, s1, s0
	s_add_i32 s1, s1, s0
	s_mul_hi_u32 s0, s6, s1
	s_mul_i32 s1, s0, s24
	s_sub_i32 s1, s6, s1
	s_add_i32 s2, s0, 1
	s_sub_i32 s3, s1, s24
	s_cmp_ge_u32 s1, s24
	s_cselect_b32 s0, s2, s0
	s_cselect_b32 s1, s3, s1
	s_add_i32 s2, s0, 1
	s_cmp_ge_u32 s1, s24
	s_cselect_b32 s26, s2, s0
	s_mul_i32 s33, s26, s24
	s_sub_i32 s0, s6, s33
	s_ashr_i32 s1, s0, 31
	s_lshl_b64 s[0:1], s[0:1], 2
	s_add_u32 s0, s10, s0
	s_addc_u32 s1, s11, s1
	s_load_dword s6, s[0:1], 0x0
	s_load_dwordx2 s[10:11], s[4:5], 0x18
	s_load_dword s34, s[4:5], 0x20
	s_load_dwordx2 s[22:23], s[4:5], 0x28
	s_load_dword s35, s[4:5], 0x30
	s_load_dwordx4 s[12:15], s[4:5], 0x50
	s_waitcnt lgkmcnt(0)
	s_ashr_i32 s7, s6, 31
	s_lshl_b64 s[0:1], s[6:7], 2
	s_add_u32 s0, s16, s0
	s_addc_u32 s1, s17, s1
	s_load_dwordx2 s[2:3], s[0:1], 0x0
	s_lshl_b32 s36, s26, 4
	v_or_b32_e32 v1, s36, v8
	s_mul_i32 s7, s6, s34
	v_cmp_gt_i32_e32 vcc, s25, v1
	s_waitcnt lgkmcnt(0)
	s_sub_i32 s4, s2, s12
	s_cmp_ge_i32 s2, s3
	s_mul_i32 s37, s34, s34
	v_cmp_eq_u32_e64 s[0:1], 0, v0
	s_cbranch_scc1 .LBB27_17
; %bb.1:
	s_mul_i32 s5, s34, s4
	v_add_u32_e32 v2, s5, v7
	v_mul_lo_u32 v9, s34, v2
	s_sub_i32 s15, s3, s12
	v_cmp_gt_i32_e64 s[2:3], s34, v7
	s_cmp_lg_u32 s14, 0
	s_cselect_b64 s[16:17], -1, 0
	s_and_b64 s[2:3], vcc, s[2:3]
	s_mul_i32 s38, s35, s34
	s_lshl_b32 s39, s34, 4
	v_mov_b32_e32 v10, 0
	s_branch .LBB27_3
.LBB27_2:                               ;   in Loop: Header=BB27_3 Depth=1
                                        ; implicit-def: $vgpr9
	s_and_b64 vcc, exec, s[26:27]
	s_cbranch_vccnz .LBB27_18
.LBB27_3:                               ; =>This Loop Header: Depth=1
                                        ;     Child Loop BB27_6 Depth 2
                                        ;     Child Loop BB27_10 Depth 2
                                        ;       Child Loop BB27_12 Depth 3
	s_ashr_i32 s5, s4, 31
	s_lshl_b64 s[26:27], s[4:5], 2
	s_add_u32 s26, s18, s26
	s_addc_u32 s27, s19, s27
	global_load_dword v2, v10, s[26:27]
	s_mov_b64 s[26:27], -1
	s_waitcnt vmcnt(0)
	v_readfirstlane_b32 s5, v2
	s_sub_i32 s5, s5, s12
	s_cmp_ge_i32 s5, s6
	s_cbranch_scc1 .LBB27_2
; %bb.4:                                ;   in Loop: Header=BB27_3 Depth=1
	s_and_saveexec_b64 s[26:27], s[0:1]
	s_cbranch_execz .LBB27_7
; %bb.5:                                ;   in Loop: Header=BB27_3 Depth=1
	s_add_i32 s28, s5, s33
	s_ashr_i32 s29, s28, 31
	s_lshl_b64 s[28:29], s[28:29], 2
	s_add_u32 s28, s8, s28
	s_addc_u32 s29, s9, s29
	global_load_dword v2, v10, s[28:29] glc
	s_waitcnt vmcnt(0)
	v_cmp_ne_u32_e32 vcc, 0, v2
	s_cbranch_vccnz .LBB27_7
.LBB27_6:                               ;   Parent Loop BB27_3 Depth=1
                                        ; =>  This Inner Loop Header: Depth=2
	global_load_dword v2, v10, s[28:29] glc
	s_waitcnt vmcnt(0)
	v_cmp_eq_u32_e32 vcc, 0, v2
	s_cbranch_vccnz .LBB27_6
.LBB27_7:                               ;   in Loop: Header=BB27_3 Depth=1
	s_or_b64 exec, exec, s[26:27]
	buffer_wbinvl1_vol
	s_barrier
	s_and_saveexec_b64 s[26:27], s[2:3]
	s_cbranch_execz .LBB27_16
; %bb.8:                                ;   in Loop: Header=BB27_3 Depth=1
	s_mul_i32 s28, s38, s5
	s_mul_i32 s40, s4, s34
	v_add_u32_e32 v11, s28, v1
	s_mov_b64 s[28:29], 0
	v_mov_b32_e32 v12, v9
	v_mov_b32_e32 v13, v7
	s_branch .LBB27_10
.LBB27_9:                               ;   in Loop: Header=BB27_10 Depth=2
	v_add_u32_e32 v4, s7, v13
	v_mad_u64_u32 v[4:5], s[30:31], v4, s35, v[1:2]
	v_mov_b32_e32 v6, s23
	v_add_u32_e32 v13, 16, v13
	v_ashrrev_i32_e32 v5, 31, v4
	v_lshlrev_b64 v[4:5], 3, v[4:5]
	v_add_u32_e32 v12, s39, v12
	v_add_co_u32_e32 v4, vcc, s22, v4
	v_addc_co_u32_e32 v5, vcc, v6, v5, vcc
	global_load_dwordx2 v[14:15], v[4:5], off
	v_cmp_le_i32_e32 vcc, s34, v13
	s_or_b64 s[28:29], vcc, s[28:29]
	s_waitcnt vmcnt(0)
	v_add_f64 v[2:3], v[14:15], -v[2:3]
	global_store_dwordx2 v[4:5], v[2:3], off
	s_andn2_b64 exec, exec, s[28:29]
	s_cbranch_execz .LBB27_16
.LBB27_10:                              ;   Parent Loop BB27_3 Depth=1
                                        ; =>  This Loop Header: Depth=2
                                        ;       Child Loop BB27_12 Depth 3
	v_mov_b32_e32 v2, 0
	v_mov_b32_e32 v3, 0
	s_mov_b32 s41, 0
	v_mov_b32_e32 v4, v11
	s_branch .LBB27_12
.LBB27_11:                              ;   in Loop: Header=BB27_12 Depth=3
	v_ashrrev_i32_e32 v6, 31, v5
	v_lshlrev_b64 v[5:6], 3, v[5:6]
	v_mov_b32_e32 v14, s11
	v_add_co_u32_e32 v5, vcc, s10, v5
	v_addc_co_u32_e32 v6, vcc, v14, v6, vcc
	global_load_dwordx2 v[14:15], v[5:6], off
	v_ashrrev_i32_e32 v5, 31, v4
	v_lshlrev_b64 v[5:6], 3, v[4:5]
	v_mov_b32_e32 v16, s23
	v_add_co_u32_e32 v5, vcc, s22, v5
	v_addc_co_u32_e32 v6, vcc, v16, v6, vcc
	global_load_dwordx2 v[5:6], v[5:6], off
	s_add_i32 s41, s41, 1
	s_cmp_eq_u32 s34, s41
	v_add_u32_e32 v4, s35, v4
	s_waitcnt vmcnt(0)
	v_fma_f64 v[2:3], v[14:15], v[5:6], v[2:3]
	s_cbranch_scc1 .LBB27_9
.LBB27_12:                              ;   Parent Loop BB27_3 Depth=1
                                        ;     Parent Loop BB27_10 Depth=2
                                        ; =>    This Inner Loop Header: Depth=3
	s_and_b64 vcc, exec, s[16:17]
	s_cbranch_vccz .LBB27_14
; %bb.13:                               ;   in Loop: Header=BB27_12 Depth=3
	s_add_i32 s30, s41, s40
	s_mul_i32 s30, s30, s34
	v_add_u32_e32 v5, s30, v13
	s_cbranch_execnz .LBB27_11
	s_branch .LBB27_15
.LBB27_14:                              ;   in Loop: Header=BB27_12 Depth=3
                                        ; implicit-def: $vgpr5
.LBB27_15:                              ;   in Loop: Header=BB27_12 Depth=3
	v_add_u32_e32 v5, s41, v12
	s_branch .LBB27_11
.LBB27_16:                              ;   in Loop: Header=BB27_3 Depth=1
	s_or_b64 exec, exec, s[26:27]
	s_add_i32 s4, s4, 1
	s_cmp_ge_i32 s4, s15
	v_add_u32_e32 v9, s37, v9
	s_cselect_b64 s[26:27], -1, 0
	s_and_b64 vcc, exec, s[26:27]
	s_cbranch_vccz .LBB27_3
	s_branch .LBB27_18
.LBB27_17:
	s_mov_b32 s5, s24
.LBB27_18:
	s_cmp_lt_i32 s6, s24
	s_cselect_b64 s[2:3], -1, 0
	s_cmp_eq_u32 s6, s5
	s_cselect_b64 s[0:1], -1, 0
	v_cmp_gt_i32_e32 vcc, s25, v1
	s_and_b64 s[0:1], vcc, s[0:1]
	s_cmp_gt_i32 s34, 0
	s_cselect_b64 s[16:17], -1, 0
	s_and_b64 s[0:1], s[0:1], s[16:17]
	s_mov_b32 s28, 0
	s_and_b64 s[18:19], s[0:1], s[2:3]
	s_mov_b64 s[0:1], 0
	s_and_saveexec_b64 s[16:17], s[18:19]
	s_cbranch_execz .LBB27_33
; %bb.19:
	v_add_u32_e32 v2, s7, v7
	v_mul_lo_u32 v2, s35, v2
	s_cmp_eq_u32 s13, 0
	s_cselect_b64 s[0:1], -1, 0
	s_cmp_lg_u32 s14, 0
	v_add_u32_e32 v2, s35, v2
	v_add3_u32 v8, v8, v2, s36
	v_cndmask_b32_e64 v2, 0, 1, s[0:1]
	s_cselect_b64 s[14:15], -1, 0
	v_add_u32_e32 v9, 1, v7
	s_mul_i32 s13, s4, s34
	s_lshl_b32 s29, s35, 4
	s_mul_i32 s30, s4, s37
	s_add_i32 s31, s34, 1
	s_mov_b64 s[4:5], 0
	v_cmp_ne_u32_e64 s[0:1], 1, v2
	v_mov_b32_e32 v10, 0
	v_mov_b32_e32 v11, s23
	s_branch .LBB27_21
.LBB27_20:                              ;   in Loop: Header=BB27_21 Depth=1
	s_or_b64 exec, exec, s[18:19]
	s_add_i32 s28, s28, 1
	s_add_i32 s30, s30, s31
	s_cmp_eq_u32 s28, s34
	v_add_u32_e32 v8, s35, v8
	s_cbranch_scc1 .LBB27_32
.LBB27_21:                              ; =>This Loop Header: Depth=1
                                        ;     Child Loop BB27_28 Depth 2
	v_mov_b32_e32 v4, 0
	v_mov_b32_e32 v5, 0x3ff00000
	s_and_b64 vcc, exec, s[0:1]
	s_cbranch_vccnz .LBB27_23
; %bb.22:                               ;   in Loop: Header=BB27_21 Depth=1
	s_add_i32 s18, s28, s13
	s_mul_i32 s18, s18, s34
	s_add_i32 s18, s18, s28
	s_ashr_i32 s19, s18, 31
	s_lshl_b64 s[18:19], s[18:19], 3
	s_add_u32 s18, s10, s18
	s_addc_u32 s19, s11, s19
	global_load_dwordx2 v[4:5], v10, s[18:19]
.LBB27_23:                              ;   in Loop: Header=BB27_21 Depth=1
	s_add_i32 s18, s28, s7
	s_mul_i32 s18, s18, s35
	s_waitcnt vmcnt(0)
	v_add_u32_e32 v2, s18, v1
	v_ashrrev_i32_e32 v3, 31, v2
	v_lshlrev_b64 v[2:3], 3, v[2:3]
	v_add_co_u32_e32 v6, vcc, s22, v2
	v_addc_co_u32_e32 v7, vcc, v11, v3, vcc
	global_load_dwordx2 v[2:3], v[6:7], off
	s_waitcnt vmcnt(1)
	v_cmp_eq_f64_e32 vcc, 0, v[4:5]
	s_cbranch_vccnz .LBB27_25
; %bb.24:                               ;   in Loop: Header=BB27_21 Depth=1
	s_waitcnt vmcnt(0)
	v_div_scale_f64 v[12:13], s[18:19], v[4:5], v[4:5], v[2:3]
	v_div_scale_f64 v[18:19], vcc, v[2:3], v[4:5], v[2:3]
	v_rcp_f64_e32 v[14:15], v[12:13]
	v_fma_f64 v[16:17], -v[12:13], v[14:15], 1.0
	v_fma_f64 v[14:15], v[14:15], v[16:17], v[14:15]
	v_fma_f64 v[16:17], -v[12:13], v[14:15], 1.0
	v_fma_f64 v[14:15], v[14:15], v[16:17], v[14:15]
	v_mul_f64 v[16:17], v[18:19], v[14:15]
	v_fma_f64 v[12:13], -v[12:13], v[16:17], v[18:19]
	v_div_fmas_f64 v[12:13], v[12:13], v[14:15], v[16:17]
	v_div_fixup_f64 v[2:3], v[12:13], v[4:5], v[2:3]
	global_store_dwordx2 v[6:7], v[2:3], off
	v_add_u32_e32 v7, s28, v9
	v_cmp_gt_i32_e32 vcc, s34, v7
	s_and_saveexec_b64 s[18:19], vcc
	s_cbranch_execz .LBB27_20
	s_branch .LBB27_26
.LBB27_25:                              ;   in Loop: Header=BB27_21 Depth=1
	s_mov_b64 s[4:5], -1
	v_add_u32_e32 v7, s28, v9
	v_cmp_gt_i32_e32 vcc, s34, v7
	s_and_saveexec_b64 s[18:19], vcc
	s_cbranch_execz .LBB27_20
.LBB27_26:                              ;   in Loop: Header=BB27_21 Depth=1
	s_mov_b64 s[24:25], 0
	v_mov_b32_e32 v4, v8
	v_mov_b32_e32 v12, v9
	s_branch .LBB27_28
.LBB27_27:                              ;   in Loop: Header=BB27_28 Depth=2
	v_ashrrev_i32_e32 v6, 31, v5
	v_lshlrev_b64 v[5:6], 3, v[5:6]
	v_mov_b32_e32 v13, s11
	v_add_co_u32_e32 v5, vcc, s10, v5
	v_addc_co_u32_e32 v6, vcc, v13, v6, vcc
	global_load_dwordx2 v[13:14], v[5:6], off
	v_ashrrev_i32_e32 v5, 31, v4
	v_lshlrev_b64 v[5:6], 3, v[4:5]
	v_mov_b32_e32 v15, s23
	v_add_co_u32_e32 v5, vcc, s22, v5
	v_addc_co_u32_e32 v6, vcc, v15, v6, vcc
	global_load_dwordx2 v[15:16], v[5:6], off
	v_add_u32_e32 v12, 16, v12
	v_add_u32_e32 v7, 16, v7
	v_add_u32_e32 v4, s29, v4
	s_waitcnt vmcnt(0)
	v_fma_f64 v[13:14], -v[2:3], v[13:14], v[15:16]
	v_add_u32_e32 v15, s28, v12
	v_cmp_le_i32_e32 vcc, s34, v15
	s_or_b64 s[24:25], vcc, s[24:25]
	global_store_dwordx2 v[5:6], v[13:14], off
	s_andn2_b64 exec, exec, s[24:25]
	s_cbranch_execz .LBB27_20
.LBB27_28:                              ;   Parent Loop BB27_21 Depth=1
                                        ; =>  This Inner Loop Header: Depth=2
	s_and_b64 vcc, exec, s[14:15]
	s_cbranch_vccz .LBB27_30
; %bb.29:                               ;   in Loop: Header=BB27_28 Depth=2
	v_add_u32_e32 v5, s30, v12
	s_cbranch_execnz .LBB27_27
	s_branch .LBB27_31
.LBB27_30:                              ;   in Loop: Header=BB27_28 Depth=2
                                        ; implicit-def: $vgpr5
.LBB27_31:                              ;   in Loop: Header=BB27_28 Depth=2
	v_add_u32_e32 v5, s13, v7
	v_mul_lo_u32 v5, v5, s34
	v_add_u32_e32 v5, s28, v5
	s_branch .LBB27_27
.LBB27_32:
	s_and_b64 s[0:1], s[4:5], exec
.LBB27_33:
	s_or_b64 exec, exec, s[16:17]
	v_cmp_eq_u32_e32 vcc, 0, v0
	s_and_b64 s[2:3], vcc, s[2:3]
	s_waitcnt vmcnt(0)
	buffer_wbinvl1_vol
	s_barrier
	s_and_saveexec_b64 s[4:5], s[2:3]
	s_cbranch_execz .LBB27_37
; %bb.34:
	s_add_i32 s2, s6, s33
	s_ashr_i32 s3, s2, 31
	s_lshl_b64 s[2:3], s[2:3], 2
	s_add_u32 s2, s8, s2
	s_addc_u32 s3, s9, s3
	v_mov_b32_e32 v0, 0
	v_mov_b32_e32 v1, 1
	global_store_dword v0, v1, s[2:3]
	s_and_b64 exec, exec, s[0:1]
	s_cbranch_execz .LBB27_37
; %bb.35:
	v_mbcnt_lo_u32_b32 v0, exec_lo, 0
	v_mbcnt_hi_u32_b32 v0, exec_hi, v0
	v_cmp_eq_u32_e32 vcc, 0, v0
	s_and_b64 exec, exec, vcc
	s_cbranch_execz .LBB27_37
; %bb.36:
	s_add_i32 s0, s6, s12
	v_mov_b32_e32 v0, 0
	v_mov_b32_e32 v1, s0
	global_atomic_smin v0, v1, s[20:21]
.LBB27_37:
	s_endpgm
	.section	.rodata,"a",@progbits
	.p2align	6, 0x0
	.amdhsa_kernel _ZN9rocsparseL24bsrsm_lower_large_kernelILj256ELj16ELb0EdEEviiPKiS2_PKT2_iPS3_iPiS2_S7_21rocsparse_index_base_20rocsparse_diag_type_20rocsparse_direction_
		.amdhsa_group_segment_fixed_size 0
		.amdhsa_private_segment_fixed_size 0
		.amdhsa_kernarg_size 92
		.amdhsa_user_sgpr_count 6
		.amdhsa_user_sgpr_private_segment_buffer 1
		.amdhsa_user_sgpr_dispatch_ptr 0
		.amdhsa_user_sgpr_queue_ptr 0
		.amdhsa_user_sgpr_kernarg_segment_ptr 1
		.amdhsa_user_sgpr_dispatch_id 0
		.amdhsa_user_sgpr_flat_scratch_init 0
		.amdhsa_user_sgpr_private_segment_size 0
		.amdhsa_uses_dynamic_stack 0
		.amdhsa_system_sgpr_private_segment_wavefront_offset 0
		.amdhsa_system_sgpr_workgroup_id_x 1
		.amdhsa_system_sgpr_workgroup_id_y 0
		.amdhsa_system_sgpr_workgroup_id_z 0
		.amdhsa_system_sgpr_workgroup_info 0
		.amdhsa_system_vgpr_workitem_id 0
		.amdhsa_next_free_vgpr 20
		.amdhsa_next_free_sgpr 42
		.amdhsa_reserve_vcc 1
		.amdhsa_reserve_flat_scratch 0
		.amdhsa_float_round_mode_32 0
		.amdhsa_float_round_mode_16_64 0
		.amdhsa_float_denorm_mode_32 3
		.amdhsa_float_denorm_mode_16_64 3
		.amdhsa_dx10_clamp 1
		.amdhsa_ieee_mode 1
		.amdhsa_fp16_overflow 0
		.amdhsa_exception_fp_ieee_invalid_op 0
		.amdhsa_exception_fp_denorm_src 0
		.amdhsa_exception_fp_ieee_div_zero 0
		.amdhsa_exception_fp_ieee_overflow 0
		.amdhsa_exception_fp_ieee_underflow 0
		.amdhsa_exception_fp_ieee_inexact 0
		.amdhsa_exception_int_div_zero 0
	.end_amdhsa_kernel
	.section	.text._ZN9rocsparseL24bsrsm_lower_large_kernelILj256ELj16ELb0EdEEviiPKiS2_PKT2_iPS3_iPiS2_S7_21rocsparse_index_base_20rocsparse_diag_type_20rocsparse_direction_,"axG",@progbits,_ZN9rocsparseL24bsrsm_lower_large_kernelILj256ELj16ELb0EdEEviiPKiS2_PKT2_iPS3_iPiS2_S7_21rocsparse_index_base_20rocsparse_diag_type_20rocsparse_direction_,comdat
.Lfunc_end27:
	.size	_ZN9rocsparseL24bsrsm_lower_large_kernelILj256ELj16ELb0EdEEviiPKiS2_PKT2_iPS3_iPiS2_S7_21rocsparse_index_base_20rocsparse_diag_type_20rocsparse_direction_, .Lfunc_end27-_ZN9rocsparseL24bsrsm_lower_large_kernelILj256ELj16ELb0EdEEviiPKiS2_PKT2_iPS3_iPiS2_S7_21rocsparse_index_base_20rocsparse_diag_type_20rocsparse_direction_
                                        ; -- End function
	.set _ZN9rocsparseL24bsrsm_lower_large_kernelILj256ELj16ELb0EdEEviiPKiS2_PKT2_iPS3_iPiS2_S7_21rocsparse_index_base_20rocsparse_diag_type_20rocsparse_direction_.num_vgpr, 20
	.set _ZN9rocsparseL24bsrsm_lower_large_kernelILj256ELj16ELb0EdEEviiPKiS2_PKT2_iPS3_iPiS2_S7_21rocsparse_index_base_20rocsparse_diag_type_20rocsparse_direction_.num_agpr, 0
	.set _ZN9rocsparseL24bsrsm_lower_large_kernelILj256ELj16ELb0EdEEviiPKiS2_PKT2_iPS3_iPiS2_S7_21rocsparse_index_base_20rocsparse_diag_type_20rocsparse_direction_.numbered_sgpr, 42
	.set _ZN9rocsparseL24bsrsm_lower_large_kernelILj256ELj16ELb0EdEEviiPKiS2_PKT2_iPS3_iPiS2_S7_21rocsparse_index_base_20rocsparse_diag_type_20rocsparse_direction_.num_named_barrier, 0
	.set _ZN9rocsparseL24bsrsm_lower_large_kernelILj256ELj16ELb0EdEEviiPKiS2_PKT2_iPS3_iPiS2_S7_21rocsparse_index_base_20rocsparse_diag_type_20rocsparse_direction_.private_seg_size, 0
	.set _ZN9rocsparseL24bsrsm_lower_large_kernelILj256ELj16ELb0EdEEviiPKiS2_PKT2_iPS3_iPiS2_S7_21rocsparse_index_base_20rocsparse_diag_type_20rocsparse_direction_.uses_vcc, 1
	.set _ZN9rocsparseL24bsrsm_lower_large_kernelILj256ELj16ELb0EdEEviiPKiS2_PKT2_iPS3_iPiS2_S7_21rocsparse_index_base_20rocsparse_diag_type_20rocsparse_direction_.uses_flat_scratch, 0
	.set _ZN9rocsparseL24bsrsm_lower_large_kernelILj256ELj16ELb0EdEEviiPKiS2_PKT2_iPS3_iPiS2_S7_21rocsparse_index_base_20rocsparse_diag_type_20rocsparse_direction_.has_dyn_sized_stack, 0
	.set _ZN9rocsparseL24bsrsm_lower_large_kernelILj256ELj16ELb0EdEEviiPKiS2_PKT2_iPS3_iPiS2_S7_21rocsparse_index_base_20rocsparse_diag_type_20rocsparse_direction_.has_recursion, 0
	.set _ZN9rocsparseL24bsrsm_lower_large_kernelILj256ELj16ELb0EdEEviiPKiS2_PKT2_iPS3_iPiS2_S7_21rocsparse_index_base_20rocsparse_diag_type_20rocsparse_direction_.has_indirect_call, 0
	.section	.AMDGPU.csdata,"",@progbits
; Kernel info:
; codeLenInByte = 1504
; TotalNumSgprs: 46
; NumVgprs: 20
; ScratchSize: 0
; MemoryBound: 0
; FloatMode: 240
; IeeeMode: 1
; LDSByteSize: 0 bytes/workgroup (compile time only)
; SGPRBlocks: 5
; VGPRBlocks: 4
; NumSGPRsForWavesPerEU: 46
; NumVGPRsForWavesPerEU: 20
; Occupancy: 10
; WaveLimiterHint : 1
; COMPUTE_PGM_RSRC2:SCRATCH_EN: 0
; COMPUTE_PGM_RSRC2:USER_SGPR: 6
; COMPUTE_PGM_RSRC2:TRAP_HANDLER: 0
; COMPUTE_PGM_RSRC2:TGID_X_EN: 1
; COMPUTE_PGM_RSRC2:TGID_Y_EN: 0
; COMPUTE_PGM_RSRC2:TGID_Z_EN: 0
; COMPUTE_PGM_RSRC2:TIDIG_COMP_CNT: 0
	.section	.text._ZN9rocsparseL24bsrsm_upper_large_kernelILj512ELj16ELb0EdEEviiPKiS2_PKT2_iPS3_iPiS2_S7_21rocsparse_index_base_20rocsparse_diag_type_20rocsparse_direction_,"axG",@progbits,_ZN9rocsparseL24bsrsm_upper_large_kernelILj512ELj16ELb0EdEEviiPKiS2_PKT2_iPS3_iPiS2_S7_21rocsparse_index_base_20rocsparse_diag_type_20rocsparse_direction_,comdat
	.globl	_ZN9rocsparseL24bsrsm_upper_large_kernelILj512ELj16ELb0EdEEviiPKiS2_PKT2_iPS3_iPiS2_S7_21rocsparse_index_base_20rocsparse_diag_type_20rocsparse_direction_ ; -- Begin function _ZN9rocsparseL24bsrsm_upper_large_kernelILj512ELj16ELb0EdEEviiPKiS2_PKT2_iPS3_iPiS2_S7_21rocsparse_index_base_20rocsparse_diag_type_20rocsparse_direction_
	.p2align	8
	.type	_ZN9rocsparseL24bsrsm_upper_large_kernelILj512ELj16ELb0EdEEviiPKiS2_PKT2_iPS3_iPiS2_S7_21rocsparse_index_base_20rocsparse_diag_type_20rocsparse_direction_,@function
_ZN9rocsparseL24bsrsm_upper_large_kernelILj512ELj16ELb0EdEEviiPKiS2_PKT2_iPS3_iPiS2_S7_21rocsparse_index_base_20rocsparse_diag_type_20rocsparse_direction_: ; @_ZN9rocsparseL24bsrsm_upper_large_kernelILj512ELj16ELb0EdEEviiPKiS2_PKT2_iPS3_iPiS2_S7_21rocsparse_index_base_20rocsparse_diag_type_20rocsparse_direction_
; %bb.0:
	s_load_dwordx2 s[24:25], s[4:5], 0x0
	s_load_dwordx4 s[16:19], s[4:5], 0x8
	s_load_dwordx4 s[8:11], s[4:5], 0x38
	s_load_dwordx2 s[20:21], s[4:5], 0x48
	v_lshrrev_b32_e32 v7, 5, v0
	v_and_b32_e32 v8, 31, v0
	s_waitcnt lgkmcnt(0)
	v_cvt_f32_u32_e32 v1, s24
	s_sub_i32 s0, 0, s24
	v_rcp_iflag_f32_e32 v1, v1
	v_mul_f32_e32 v1, 0x4f7ffffe, v1
	v_cvt_u32_f32_e32 v1, v1
	v_readfirstlane_b32 s1, v1
	s_mul_i32 s0, s0, s1
	s_mul_hi_u32 s0, s1, s0
	s_add_i32 s1, s1, s0
	s_mul_hi_u32 s0, s6, s1
	s_mul_i32 s1, s0, s24
	s_sub_i32 s1, s6, s1
	s_add_i32 s2, s0, 1
	s_sub_i32 s3, s1, s24
	s_cmp_ge_u32 s1, s24
	s_cselect_b32 s0, s2, s0
	s_cselect_b32 s1, s3, s1
	s_add_i32 s2, s0, 1
	s_cmp_ge_u32 s1, s24
	s_cselect_b32 s26, s2, s0
	s_mul_i32 s33, s26, s24
	s_sub_i32 s0, s6, s33
	s_ashr_i32 s1, s0, 31
	s_lshl_b64 s[0:1], s[0:1], 2
	s_add_u32 s0, s10, s0
	s_addc_u32 s1, s11, s1
	s_load_dword s6, s[0:1], 0x0
	s_load_dwordx2 s[10:11], s[4:5], 0x18
	s_load_dword s34, s[4:5], 0x20
	s_load_dwordx2 s[22:23], s[4:5], 0x28
	s_load_dword s35, s[4:5], 0x30
	s_load_dwordx4 s[12:15], s[4:5], 0x50
	s_waitcnt lgkmcnt(0)
	s_ashr_i32 s7, s6, 31
	s_lshl_b64 s[0:1], s[6:7], 2
	s_add_u32 s0, s16, s0
	s_addc_u32 s1, s17, s1
	s_load_dwordx2 s[2:3], s[0:1], 0x0
	s_lshl_b32 s36, s26, 4
	s_not_b32 s0, s12
	v_or_b32_e32 v1, s36, v7
	v_cmp_gt_i32_e32 vcc, s25, v1
	s_waitcnt lgkmcnt(0)
	s_sub_i32 s15, s2, s12
	s_add_i32 s4, s3, s0
	s_cmp_lt_i32 s4, s15
	s_mul_i32 s7, s6, s34
	v_cmp_eq_u32_e64 s[0:1], 0, v0
	s_cbranch_scc1 .LBB28_17
; %bb.1:
	s_mul_i32 s5, s34, s4
	v_add_u32_e32 v2, s5, v8
	v_mul_lo_u32 v9, s34, v2
	v_cmp_gt_i32_e64 s[2:3], s34, v8
	s_cmp_lg_u32 s14, 0
	s_cselect_b64 s[16:17], -1, 0
	s_and_b64 s[2:3], vcc, s[2:3]
	s_mul_i32 s37, s35, s34
	s_mul_i32 s38, s34, s34
	s_lshl_b32 s39, s34, 5
	v_mov_b32_e32 v10, 0
	s_branch .LBB28_3
.LBB28_2:                               ;   in Loop: Header=BB28_3 Depth=1
                                        ; implicit-def: $vgpr9
	s_and_b64 vcc, exec, s[26:27]
	s_cbranch_vccnz .LBB28_18
.LBB28_3:                               ; =>This Loop Header: Depth=1
                                        ;     Child Loop BB28_6 Depth 2
                                        ;     Child Loop BB28_10 Depth 2
                                        ;       Child Loop BB28_12 Depth 3
	s_ashr_i32 s5, s4, 31
	s_lshl_b64 s[26:27], s[4:5], 2
	s_add_u32 s26, s18, s26
	s_addc_u32 s27, s19, s27
	global_load_dword v2, v10, s[26:27]
	s_mov_b64 s[26:27], -1
	s_waitcnt vmcnt(0)
	v_readfirstlane_b32 s5, v2
	s_sub_i32 s5, s5, s12
	s_cmp_le_i32 s5, s6
	s_cbranch_scc1 .LBB28_2
; %bb.4:                                ;   in Loop: Header=BB28_3 Depth=1
	s_and_saveexec_b64 s[26:27], s[0:1]
	s_cbranch_execz .LBB28_7
; %bb.5:                                ;   in Loop: Header=BB28_3 Depth=1
	s_add_i32 s28, s5, s33
	s_ashr_i32 s29, s28, 31
	s_lshl_b64 s[28:29], s[28:29], 2
	s_add_u32 s28, s8, s28
	s_addc_u32 s29, s9, s29
	global_load_dword v2, v10, s[28:29] glc
	s_waitcnt vmcnt(0)
	v_cmp_ne_u32_e32 vcc, 0, v2
	s_cbranch_vccnz .LBB28_7
.LBB28_6:                               ;   Parent Loop BB28_3 Depth=1
                                        ; =>  This Inner Loop Header: Depth=2
	global_load_dword v2, v10, s[28:29] glc
	s_waitcnt vmcnt(0)
	v_cmp_eq_u32_e32 vcc, 0, v2
	s_cbranch_vccnz .LBB28_6
.LBB28_7:                               ;   in Loop: Header=BB28_3 Depth=1
	s_or_b64 exec, exec, s[26:27]
	buffer_wbinvl1_vol
	s_barrier
	s_and_saveexec_b64 s[26:27], s[2:3]
	s_cbranch_execz .LBB28_16
; %bb.8:                                ;   in Loop: Header=BB28_3 Depth=1
	s_mul_i32 s28, s37, s5
	s_mul_i32 s40, s4, s34
	v_add_u32_e32 v11, s28, v1
	s_mov_b64 s[28:29], 0
	v_mov_b32_e32 v12, v9
	v_mov_b32_e32 v13, v8
	s_branch .LBB28_10
.LBB28_9:                               ;   in Loop: Header=BB28_10 Depth=2
	v_add_u32_e32 v4, s7, v13
	v_mad_u64_u32 v[4:5], s[30:31], v4, s35, v[1:2]
	v_mov_b32_e32 v6, s23
	v_add_u32_e32 v13, 32, v13
	v_ashrrev_i32_e32 v5, 31, v4
	v_lshlrev_b64 v[4:5], 3, v[4:5]
	v_add_u32_e32 v12, s39, v12
	v_add_co_u32_e32 v4, vcc, s22, v4
	v_addc_co_u32_e32 v5, vcc, v6, v5, vcc
	global_load_dwordx2 v[14:15], v[4:5], off
	v_cmp_le_i32_e32 vcc, s34, v13
	s_or_b64 s[28:29], vcc, s[28:29]
	s_waitcnt vmcnt(0)
	v_add_f64 v[2:3], v[14:15], -v[2:3]
	global_store_dwordx2 v[4:5], v[2:3], off
	s_andn2_b64 exec, exec, s[28:29]
	s_cbranch_execz .LBB28_16
.LBB28_10:                              ;   Parent Loop BB28_3 Depth=1
                                        ; =>  This Loop Header: Depth=2
                                        ;       Child Loop BB28_12 Depth 3
	v_mov_b32_e32 v2, 0
	v_mov_b32_e32 v3, 0
	s_mov_b32 s41, 0
	v_mov_b32_e32 v4, v11
	s_branch .LBB28_12
.LBB28_11:                              ;   in Loop: Header=BB28_12 Depth=3
	v_ashrrev_i32_e32 v6, 31, v5
	v_lshlrev_b64 v[5:6], 3, v[5:6]
	v_mov_b32_e32 v14, s11
	v_add_co_u32_e32 v5, vcc, s10, v5
	v_addc_co_u32_e32 v6, vcc, v14, v6, vcc
	global_load_dwordx2 v[14:15], v[5:6], off
	v_ashrrev_i32_e32 v5, 31, v4
	v_lshlrev_b64 v[5:6], 3, v[4:5]
	v_mov_b32_e32 v16, s23
	v_add_co_u32_e32 v5, vcc, s22, v5
	v_addc_co_u32_e32 v6, vcc, v16, v6, vcc
	global_load_dwordx2 v[5:6], v[5:6], off
	s_add_i32 s41, s41, 1
	s_cmp_eq_u32 s34, s41
	v_add_u32_e32 v4, s35, v4
	s_waitcnt vmcnt(0)
	v_fma_f64 v[2:3], v[14:15], v[5:6], v[2:3]
	s_cbranch_scc1 .LBB28_9
.LBB28_12:                              ;   Parent Loop BB28_3 Depth=1
                                        ;     Parent Loop BB28_10 Depth=2
                                        ; =>    This Inner Loop Header: Depth=3
	s_and_b64 vcc, exec, s[16:17]
	s_cbranch_vccz .LBB28_14
; %bb.13:                               ;   in Loop: Header=BB28_12 Depth=3
	s_add_i32 s30, s41, s40
	s_mul_i32 s30, s30, s34
	v_add_u32_e32 v5, s30, v13
	s_cbranch_execnz .LBB28_11
	s_branch .LBB28_15
.LBB28_14:                              ;   in Loop: Header=BB28_12 Depth=3
                                        ; implicit-def: $vgpr5
.LBB28_15:                              ;   in Loop: Header=BB28_12 Depth=3
	v_add_u32_e32 v5, s41, v12
	s_branch .LBB28_11
.LBB28_16:                              ;   in Loop: Header=BB28_3 Depth=1
	s_or_b64 exec, exec, s[26:27]
	s_add_i32 s28, s4, -1
	s_cmp_le_i32 s4, s15
	v_subrev_u32_e32 v9, s38, v9
	s_cselect_b64 s[26:27], -1, 0
	s_mov_b32 s4, s28
	s_and_b64 vcc, exec, s[26:27]
	s_cbranch_vccz .LBB28_3
	s_branch .LBB28_18
.LBB28_17:
	s_mov_b32 s5, s24
.LBB28_18:
	s_cmp_lt_i32 s6, s24
	s_cselect_b64 s[2:3], -1, 0
	s_cmp_eq_u32 s6, s5
	s_cselect_b64 s[0:1], -1, 0
	v_cmp_gt_i32_e32 vcc, s25, v1
	s_and_b64 s[0:1], vcc, s[0:1]
	s_cmp_gt_i32 s34, 0
	s_cselect_b64 s[16:17], -1, 0
	s_and_b64 s[0:1], s[0:1], s[16:17]
	s_and_b64 s[18:19], s[0:1], s[2:3]
	s_mov_b64 s[0:1], 0
	s_and_saveexec_b64 s[16:17], s[18:19]
	s_cbranch_execz .LBB28_35
; %bb.19:
	v_add_u32_e32 v2, s7, v8
	s_cmp_eq_u32 s13, 0
	v_mul_lo_u32 v2, s35, v2
	s_cselect_b64 s[0:1], -1, 0
	s_cmp_lg_u32 s14, 0
	s_cselect_b64 s[14:15], -1, 0
	s_mul_i32 s13, s4, s34
	s_add_i32 s4, s4, 1
	s_mul_i32 s4, s34, s4
	v_add3_u32 v9, v7, v2, s36
	s_add_i32 s4, s4, -1
	v_cndmask_b32_e64 v2, 0, 1, s[0:1]
	s_lshl_b32 s28, s35, 5
	s_mul_i32 s29, s34, s4
	s_mov_b64 s[4:5], 0
	v_cmp_ne_u32_e64 s[0:1], 1, v2
	v_mov_b32_e32 v10, 0
	v_mov_b32_e32 v11, s23
	s_mov_b32 s30, s34
.LBB28_20:                              ; =>This Loop Header: Depth=1
                                        ;     Child Loop BB28_27 Depth 2
	v_mov_b32_e32 v4, 0
	v_mov_b32_e32 v5, 0x3ff00000
	s_and_b64 vcc, exec, s[0:1]
	s_add_i32 s31, s30, -1
	s_cbranch_vccnz .LBB28_22
; %bb.21:                               ;   in Loop: Header=BB28_20 Depth=1
	s_add_i32 s18, s31, s13
	s_mul_i32 s18, s18, s34
	s_add_i32 s18, s18, s31
	s_ashr_i32 s19, s18, 31
	s_lshl_b64 s[18:19], s[18:19], 3
	s_add_u32 s18, s10, s18
	s_addc_u32 s19, s11, s19
	global_load_dwordx2 v[4:5], v10, s[18:19]
.LBB28_22:                              ;   in Loop: Header=BB28_20 Depth=1
	s_add_i32 s18, s31, s7
	s_mul_i32 s18, s18, s35
	s_waitcnt vmcnt(0)
	v_add_u32_e32 v2, s18, v1
	v_ashrrev_i32_e32 v3, 31, v2
	v_lshlrev_b64 v[2:3], 3, v[2:3]
	v_add_co_u32_e32 v6, vcc, s22, v2
	v_addc_co_u32_e32 v7, vcc, v11, v3, vcc
	global_load_dwordx2 v[2:3], v[6:7], off
	s_waitcnt vmcnt(1)
	v_cmp_eq_f64_e32 vcc, 0, v[4:5]
	s_cbranch_vccnz .LBB28_24
; %bb.23:                               ;   in Loop: Header=BB28_20 Depth=1
	s_waitcnt vmcnt(0)
	v_div_scale_f64 v[12:13], s[18:19], v[4:5], v[4:5], v[2:3]
	v_div_scale_f64 v[18:19], vcc, v[2:3], v[4:5], v[2:3]
	v_rcp_f64_e32 v[14:15], v[12:13]
	v_fma_f64 v[16:17], -v[12:13], v[14:15], 1.0
	v_fma_f64 v[14:15], v[14:15], v[16:17], v[14:15]
	v_fma_f64 v[16:17], -v[12:13], v[14:15], 1.0
	v_fma_f64 v[14:15], v[14:15], v[16:17], v[14:15]
	v_mul_f64 v[16:17], v[18:19], v[14:15]
	v_fma_f64 v[12:13], -v[12:13], v[16:17], v[18:19]
	v_div_fmas_f64 v[12:13], v[12:13], v[14:15], v[16:17]
	v_div_fixup_f64 v[2:3], v[12:13], v[4:5], v[2:3]
	global_store_dwordx2 v[6:7], v[2:3], off
	v_cmp_gt_i32_e32 vcc, s31, v8
	s_and_saveexec_b64 s[18:19], vcc
	s_cbranch_execnz .LBB28_25
	s_branch .LBB28_31
.LBB28_24:                              ;   in Loop: Header=BB28_20 Depth=1
	s_mov_b64 s[4:5], -1
	v_cmp_gt_i32_e32 vcc, s31, v8
	s_and_saveexec_b64 s[18:19], vcc
	s_cbranch_execz .LBB28_31
.LBB28_25:                              ;   in Loop: Header=BB28_20 Depth=1
	s_mov_b64 s[24:25], 0
	v_mov_b32_e32 v4, v9
	v_mov_b32_e32 v7, v8
	s_branch .LBB28_27
.LBB28_26:                              ;   in Loop: Header=BB28_27 Depth=2
	v_ashrrev_i32_e32 v6, 31, v5
	v_lshlrev_b64 v[5:6], 3, v[5:6]
	v_mov_b32_e32 v12, s11
	v_add_co_u32_e32 v5, vcc, s10, v5
	v_addc_co_u32_e32 v6, vcc, v12, v6, vcc
	global_load_dwordx2 v[12:13], v[5:6], off
	v_ashrrev_i32_e32 v5, 31, v4
	v_lshlrev_b64 v[5:6], 3, v[4:5]
	v_mov_b32_e32 v14, s23
	v_add_co_u32_e32 v5, vcc, s22, v5
	v_addc_co_u32_e32 v6, vcc, v14, v6, vcc
	global_load_dwordx2 v[14:15], v[5:6], off
	v_add_u32_e32 v7, 32, v7
	v_cmp_le_i32_e32 vcc, s31, v7
	s_or_b64 s[24:25], vcc, s[24:25]
	v_add_u32_e32 v4, s28, v4
	s_waitcnt vmcnt(0)
	v_fma_f64 v[12:13], -v[2:3], v[12:13], v[14:15]
	global_store_dwordx2 v[5:6], v[12:13], off
	s_andn2_b64 exec, exec, s[24:25]
	s_cbranch_execz .LBB28_31
.LBB28_27:                              ;   Parent Loop BB28_20 Depth=1
                                        ; =>  This Inner Loop Header: Depth=2
	s_and_b64 vcc, exec, s[14:15]
	s_cbranch_vccz .LBB28_29
; %bb.28:                               ;   in Loop: Header=BB28_27 Depth=2
	v_add_u32_e32 v5, s29, v7
	s_cbranch_execnz .LBB28_26
	s_branch .LBB28_30
.LBB28_29:                              ;   in Loop: Header=BB28_27 Depth=2
                                        ; implicit-def: $vgpr5
.LBB28_30:                              ;   in Loop: Header=BB28_27 Depth=2
	v_add_u32_e32 v5, s13, v7
	v_mul_lo_u32 v5, v5, s34
	v_add_u32_e32 v5, s31, v5
	s_branch .LBB28_26
.LBB28_31:                              ;   in Loop: Header=BB28_20 Depth=1
	s_or_b64 exec, exec, s[18:19]
; %bb.32:                               ;   in Loop: Header=BB28_20 Depth=1
	s_sub_i32 s29, s29, s34
	s_cmp_lt_i32 s30, 2
	s_cbranch_scc1 .LBB28_34
; %bb.33:                               ;   in Loop: Header=BB28_20 Depth=1
	s_mov_b32 s30, s31
	s_branch .LBB28_20
.LBB28_34:
	s_and_b64 s[0:1], s[4:5], exec
.LBB28_35:
	s_or_b64 exec, exec, s[16:17]
	v_cmp_eq_u32_e32 vcc, 0, v0
	s_and_b64 s[2:3], vcc, s[2:3]
	s_waitcnt vmcnt(0)
	buffer_wbinvl1_vol
	s_barrier
	s_and_saveexec_b64 s[4:5], s[2:3]
	s_cbranch_execz .LBB28_39
; %bb.36:
	s_add_i32 s2, s6, s33
	s_ashr_i32 s3, s2, 31
	s_lshl_b64 s[2:3], s[2:3], 2
	s_add_u32 s2, s8, s2
	s_addc_u32 s3, s9, s3
	v_mov_b32_e32 v0, 0
	v_mov_b32_e32 v1, 1
	global_store_dword v0, v1, s[2:3]
	s_and_b64 exec, exec, s[0:1]
	s_cbranch_execz .LBB28_39
; %bb.37:
	v_mbcnt_lo_u32_b32 v0, exec_lo, 0
	v_mbcnt_hi_u32_b32 v0, exec_hi, v0
	v_cmp_eq_u32_e32 vcc, 0, v0
	s_and_b64 exec, exec, vcc
	s_cbranch_execz .LBB28_39
; %bb.38:
	s_add_i32 s0, s6, s12
	v_mov_b32_e32 v0, 0
	v_mov_b32_e32 v1, s0
	global_atomic_smin v0, v1, s[20:21]
.LBB28_39:
	s_endpgm
	.section	.rodata,"a",@progbits
	.p2align	6, 0x0
	.amdhsa_kernel _ZN9rocsparseL24bsrsm_upper_large_kernelILj512ELj16ELb0EdEEviiPKiS2_PKT2_iPS3_iPiS2_S7_21rocsparse_index_base_20rocsparse_diag_type_20rocsparse_direction_
		.amdhsa_group_segment_fixed_size 0
		.amdhsa_private_segment_fixed_size 0
		.amdhsa_kernarg_size 92
		.amdhsa_user_sgpr_count 6
		.amdhsa_user_sgpr_private_segment_buffer 1
		.amdhsa_user_sgpr_dispatch_ptr 0
		.amdhsa_user_sgpr_queue_ptr 0
		.amdhsa_user_sgpr_kernarg_segment_ptr 1
		.amdhsa_user_sgpr_dispatch_id 0
		.amdhsa_user_sgpr_flat_scratch_init 0
		.amdhsa_user_sgpr_private_segment_size 0
		.amdhsa_uses_dynamic_stack 0
		.amdhsa_system_sgpr_private_segment_wavefront_offset 0
		.amdhsa_system_sgpr_workgroup_id_x 1
		.amdhsa_system_sgpr_workgroup_id_y 0
		.amdhsa_system_sgpr_workgroup_id_z 0
		.amdhsa_system_sgpr_workgroup_info 0
		.amdhsa_system_vgpr_workitem_id 0
		.amdhsa_next_free_vgpr 20
		.amdhsa_next_free_sgpr 42
		.amdhsa_reserve_vcc 1
		.amdhsa_reserve_flat_scratch 0
		.amdhsa_float_round_mode_32 0
		.amdhsa_float_round_mode_16_64 0
		.amdhsa_float_denorm_mode_32 3
		.amdhsa_float_denorm_mode_16_64 3
		.amdhsa_dx10_clamp 1
		.amdhsa_ieee_mode 1
		.amdhsa_fp16_overflow 0
		.amdhsa_exception_fp_ieee_invalid_op 0
		.amdhsa_exception_fp_denorm_src 0
		.amdhsa_exception_fp_ieee_div_zero 0
		.amdhsa_exception_fp_ieee_overflow 0
		.amdhsa_exception_fp_ieee_underflow 0
		.amdhsa_exception_fp_ieee_inexact 0
		.amdhsa_exception_int_div_zero 0
	.end_amdhsa_kernel
	.section	.text._ZN9rocsparseL24bsrsm_upper_large_kernelILj512ELj16ELb0EdEEviiPKiS2_PKT2_iPS3_iPiS2_S7_21rocsparse_index_base_20rocsparse_diag_type_20rocsparse_direction_,"axG",@progbits,_ZN9rocsparseL24bsrsm_upper_large_kernelILj512ELj16ELb0EdEEviiPKiS2_PKT2_iPS3_iPiS2_S7_21rocsparse_index_base_20rocsparse_diag_type_20rocsparse_direction_,comdat
.Lfunc_end28:
	.size	_ZN9rocsparseL24bsrsm_upper_large_kernelILj512ELj16ELb0EdEEviiPKiS2_PKT2_iPS3_iPiS2_S7_21rocsparse_index_base_20rocsparse_diag_type_20rocsparse_direction_, .Lfunc_end28-_ZN9rocsparseL24bsrsm_upper_large_kernelILj512ELj16ELb0EdEEviiPKiS2_PKT2_iPS3_iPiS2_S7_21rocsparse_index_base_20rocsparse_diag_type_20rocsparse_direction_
                                        ; -- End function
	.set _ZN9rocsparseL24bsrsm_upper_large_kernelILj512ELj16ELb0EdEEviiPKiS2_PKT2_iPS3_iPiS2_S7_21rocsparse_index_base_20rocsparse_diag_type_20rocsparse_direction_.num_vgpr, 20
	.set _ZN9rocsparseL24bsrsm_upper_large_kernelILj512ELj16ELb0EdEEviiPKiS2_PKT2_iPS3_iPiS2_S7_21rocsparse_index_base_20rocsparse_diag_type_20rocsparse_direction_.num_agpr, 0
	.set _ZN9rocsparseL24bsrsm_upper_large_kernelILj512ELj16ELb0EdEEviiPKiS2_PKT2_iPS3_iPiS2_S7_21rocsparse_index_base_20rocsparse_diag_type_20rocsparse_direction_.numbered_sgpr, 42
	.set _ZN9rocsparseL24bsrsm_upper_large_kernelILj512ELj16ELb0EdEEviiPKiS2_PKT2_iPS3_iPiS2_S7_21rocsparse_index_base_20rocsparse_diag_type_20rocsparse_direction_.num_named_barrier, 0
	.set _ZN9rocsparseL24bsrsm_upper_large_kernelILj512ELj16ELb0EdEEviiPKiS2_PKT2_iPS3_iPiS2_S7_21rocsparse_index_base_20rocsparse_diag_type_20rocsparse_direction_.private_seg_size, 0
	.set _ZN9rocsparseL24bsrsm_upper_large_kernelILj512ELj16ELb0EdEEviiPKiS2_PKT2_iPS3_iPiS2_S7_21rocsparse_index_base_20rocsparse_diag_type_20rocsparse_direction_.uses_vcc, 1
	.set _ZN9rocsparseL24bsrsm_upper_large_kernelILj512ELj16ELb0EdEEviiPKiS2_PKT2_iPS3_iPiS2_S7_21rocsparse_index_base_20rocsparse_diag_type_20rocsparse_direction_.uses_flat_scratch, 0
	.set _ZN9rocsparseL24bsrsm_upper_large_kernelILj512ELj16ELb0EdEEviiPKiS2_PKT2_iPS3_iPiS2_S7_21rocsparse_index_base_20rocsparse_diag_type_20rocsparse_direction_.has_dyn_sized_stack, 0
	.set _ZN9rocsparseL24bsrsm_upper_large_kernelILj512ELj16ELb0EdEEviiPKiS2_PKT2_iPS3_iPiS2_S7_21rocsparse_index_base_20rocsparse_diag_type_20rocsparse_direction_.has_recursion, 0
	.set _ZN9rocsparseL24bsrsm_upper_large_kernelILj512ELj16ELb0EdEEviiPKiS2_PKT2_iPS3_iPiS2_S7_21rocsparse_index_base_20rocsparse_diag_type_20rocsparse_direction_.has_indirect_call, 0
	.section	.AMDGPU.csdata,"",@progbits
; Kernel info:
; codeLenInByte = 1496
; TotalNumSgprs: 46
; NumVgprs: 20
; ScratchSize: 0
; MemoryBound: 0
; FloatMode: 240
; IeeeMode: 1
; LDSByteSize: 0 bytes/workgroup (compile time only)
; SGPRBlocks: 5
; VGPRBlocks: 4
; NumSGPRsForWavesPerEU: 46
; NumVGPRsForWavesPerEU: 20
; Occupancy: 10
; WaveLimiterHint : 1
; COMPUTE_PGM_RSRC2:SCRATCH_EN: 0
; COMPUTE_PGM_RSRC2:USER_SGPR: 6
; COMPUTE_PGM_RSRC2:TRAP_HANDLER: 0
; COMPUTE_PGM_RSRC2:TGID_X_EN: 1
; COMPUTE_PGM_RSRC2:TGID_Y_EN: 0
; COMPUTE_PGM_RSRC2:TGID_Z_EN: 0
; COMPUTE_PGM_RSRC2:TIDIG_COMP_CNT: 0
	.section	.text._ZN9rocsparseL24bsrsm_lower_large_kernelILj512ELj16ELb0EdEEviiPKiS2_PKT2_iPS3_iPiS2_S7_21rocsparse_index_base_20rocsparse_diag_type_20rocsparse_direction_,"axG",@progbits,_ZN9rocsparseL24bsrsm_lower_large_kernelILj512ELj16ELb0EdEEviiPKiS2_PKT2_iPS3_iPiS2_S7_21rocsparse_index_base_20rocsparse_diag_type_20rocsparse_direction_,comdat
	.globl	_ZN9rocsparseL24bsrsm_lower_large_kernelILj512ELj16ELb0EdEEviiPKiS2_PKT2_iPS3_iPiS2_S7_21rocsparse_index_base_20rocsparse_diag_type_20rocsparse_direction_ ; -- Begin function _ZN9rocsparseL24bsrsm_lower_large_kernelILj512ELj16ELb0EdEEviiPKiS2_PKT2_iPS3_iPiS2_S7_21rocsparse_index_base_20rocsparse_diag_type_20rocsparse_direction_
	.p2align	8
	.type	_ZN9rocsparseL24bsrsm_lower_large_kernelILj512ELj16ELb0EdEEviiPKiS2_PKT2_iPS3_iPiS2_S7_21rocsparse_index_base_20rocsparse_diag_type_20rocsparse_direction_,@function
_ZN9rocsparseL24bsrsm_lower_large_kernelILj512ELj16ELb0EdEEviiPKiS2_PKT2_iPS3_iPiS2_S7_21rocsparse_index_base_20rocsparse_diag_type_20rocsparse_direction_: ; @_ZN9rocsparseL24bsrsm_lower_large_kernelILj512ELj16ELb0EdEEviiPKiS2_PKT2_iPS3_iPiS2_S7_21rocsparse_index_base_20rocsparse_diag_type_20rocsparse_direction_
; %bb.0:
	s_load_dwordx2 s[24:25], s[4:5], 0x0
	s_load_dwordx4 s[16:19], s[4:5], 0x8
	s_load_dwordx4 s[8:11], s[4:5], 0x38
	s_load_dwordx2 s[20:21], s[4:5], 0x48
	v_lshrrev_b32_e32 v8, 5, v0
	v_and_b32_e32 v7, 31, v0
	s_waitcnt lgkmcnt(0)
	v_cvt_f32_u32_e32 v1, s24
	s_sub_i32 s0, 0, s24
	v_rcp_iflag_f32_e32 v1, v1
	v_mul_f32_e32 v1, 0x4f7ffffe, v1
	v_cvt_u32_f32_e32 v1, v1
	v_readfirstlane_b32 s1, v1
	s_mul_i32 s0, s0, s1
	s_mul_hi_u32 s0, s1, s0
	s_add_i32 s1, s1, s0
	s_mul_hi_u32 s0, s6, s1
	s_mul_i32 s1, s0, s24
	s_sub_i32 s1, s6, s1
	s_add_i32 s2, s0, 1
	s_sub_i32 s3, s1, s24
	s_cmp_ge_u32 s1, s24
	s_cselect_b32 s0, s2, s0
	s_cselect_b32 s1, s3, s1
	s_add_i32 s2, s0, 1
	s_cmp_ge_u32 s1, s24
	s_cselect_b32 s26, s2, s0
	s_mul_i32 s33, s26, s24
	s_sub_i32 s0, s6, s33
	s_ashr_i32 s1, s0, 31
	s_lshl_b64 s[0:1], s[0:1], 2
	s_add_u32 s0, s10, s0
	s_addc_u32 s1, s11, s1
	s_load_dword s6, s[0:1], 0x0
	s_load_dwordx2 s[10:11], s[4:5], 0x18
	s_load_dword s34, s[4:5], 0x20
	s_load_dwordx2 s[22:23], s[4:5], 0x28
	s_load_dword s35, s[4:5], 0x30
	s_load_dwordx4 s[12:15], s[4:5], 0x50
	s_waitcnt lgkmcnt(0)
	s_ashr_i32 s7, s6, 31
	s_lshl_b64 s[0:1], s[6:7], 2
	s_add_u32 s0, s16, s0
	s_addc_u32 s1, s17, s1
	s_load_dwordx2 s[2:3], s[0:1], 0x0
	s_lshl_b32 s36, s26, 4
	v_or_b32_e32 v1, s36, v8
	s_mul_i32 s7, s6, s34
	v_cmp_gt_i32_e32 vcc, s25, v1
	s_waitcnt lgkmcnt(0)
	s_sub_i32 s4, s2, s12
	s_cmp_ge_i32 s2, s3
	s_mul_i32 s37, s34, s34
	v_cmp_eq_u32_e64 s[0:1], 0, v0
	s_cbranch_scc1 .LBB29_17
; %bb.1:
	s_mul_i32 s5, s34, s4
	v_add_u32_e32 v2, s5, v7
	v_mul_lo_u32 v9, s34, v2
	s_sub_i32 s15, s3, s12
	v_cmp_gt_i32_e64 s[2:3], s34, v7
	s_cmp_lg_u32 s14, 0
	s_cselect_b64 s[16:17], -1, 0
	s_and_b64 s[2:3], vcc, s[2:3]
	s_mul_i32 s38, s35, s34
	s_lshl_b32 s39, s34, 5
	v_mov_b32_e32 v10, 0
	s_branch .LBB29_3
.LBB29_2:                               ;   in Loop: Header=BB29_3 Depth=1
                                        ; implicit-def: $vgpr9
	s_and_b64 vcc, exec, s[26:27]
	s_cbranch_vccnz .LBB29_18
.LBB29_3:                               ; =>This Loop Header: Depth=1
                                        ;     Child Loop BB29_6 Depth 2
                                        ;     Child Loop BB29_10 Depth 2
                                        ;       Child Loop BB29_12 Depth 3
	s_ashr_i32 s5, s4, 31
	s_lshl_b64 s[26:27], s[4:5], 2
	s_add_u32 s26, s18, s26
	s_addc_u32 s27, s19, s27
	global_load_dword v2, v10, s[26:27]
	s_mov_b64 s[26:27], -1
	s_waitcnt vmcnt(0)
	v_readfirstlane_b32 s5, v2
	s_sub_i32 s5, s5, s12
	s_cmp_ge_i32 s5, s6
	s_cbranch_scc1 .LBB29_2
; %bb.4:                                ;   in Loop: Header=BB29_3 Depth=1
	s_and_saveexec_b64 s[26:27], s[0:1]
	s_cbranch_execz .LBB29_7
; %bb.5:                                ;   in Loop: Header=BB29_3 Depth=1
	s_add_i32 s28, s5, s33
	s_ashr_i32 s29, s28, 31
	s_lshl_b64 s[28:29], s[28:29], 2
	s_add_u32 s28, s8, s28
	s_addc_u32 s29, s9, s29
	global_load_dword v2, v10, s[28:29] glc
	s_waitcnt vmcnt(0)
	v_cmp_ne_u32_e32 vcc, 0, v2
	s_cbranch_vccnz .LBB29_7
.LBB29_6:                               ;   Parent Loop BB29_3 Depth=1
                                        ; =>  This Inner Loop Header: Depth=2
	global_load_dword v2, v10, s[28:29] glc
	s_waitcnt vmcnt(0)
	v_cmp_eq_u32_e32 vcc, 0, v2
	s_cbranch_vccnz .LBB29_6
.LBB29_7:                               ;   in Loop: Header=BB29_3 Depth=1
	s_or_b64 exec, exec, s[26:27]
	buffer_wbinvl1_vol
	s_barrier
	s_and_saveexec_b64 s[26:27], s[2:3]
	s_cbranch_execz .LBB29_16
; %bb.8:                                ;   in Loop: Header=BB29_3 Depth=1
	s_mul_i32 s28, s38, s5
	s_mul_i32 s40, s4, s34
	v_add_u32_e32 v11, s28, v1
	s_mov_b64 s[28:29], 0
	v_mov_b32_e32 v12, v9
	v_mov_b32_e32 v13, v7
	s_branch .LBB29_10
.LBB29_9:                               ;   in Loop: Header=BB29_10 Depth=2
	v_add_u32_e32 v4, s7, v13
	v_mad_u64_u32 v[4:5], s[30:31], v4, s35, v[1:2]
	v_mov_b32_e32 v6, s23
	v_add_u32_e32 v13, 32, v13
	v_ashrrev_i32_e32 v5, 31, v4
	v_lshlrev_b64 v[4:5], 3, v[4:5]
	v_add_u32_e32 v12, s39, v12
	v_add_co_u32_e32 v4, vcc, s22, v4
	v_addc_co_u32_e32 v5, vcc, v6, v5, vcc
	global_load_dwordx2 v[14:15], v[4:5], off
	v_cmp_le_i32_e32 vcc, s34, v13
	s_or_b64 s[28:29], vcc, s[28:29]
	s_waitcnt vmcnt(0)
	v_add_f64 v[2:3], v[14:15], -v[2:3]
	global_store_dwordx2 v[4:5], v[2:3], off
	s_andn2_b64 exec, exec, s[28:29]
	s_cbranch_execz .LBB29_16
.LBB29_10:                              ;   Parent Loop BB29_3 Depth=1
                                        ; =>  This Loop Header: Depth=2
                                        ;       Child Loop BB29_12 Depth 3
	v_mov_b32_e32 v2, 0
	v_mov_b32_e32 v3, 0
	s_mov_b32 s41, 0
	v_mov_b32_e32 v4, v11
	s_branch .LBB29_12
.LBB29_11:                              ;   in Loop: Header=BB29_12 Depth=3
	v_ashrrev_i32_e32 v6, 31, v5
	v_lshlrev_b64 v[5:6], 3, v[5:6]
	v_mov_b32_e32 v14, s11
	v_add_co_u32_e32 v5, vcc, s10, v5
	v_addc_co_u32_e32 v6, vcc, v14, v6, vcc
	global_load_dwordx2 v[14:15], v[5:6], off
	v_ashrrev_i32_e32 v5, 31, v4
	v_lshlrev_b64 v[5:6], 3, v[4:5]
	v_mov_b32_e32 v16, s23
	v_add_co_u32_e32 v5, vcc, s22, v5
	v_addc_co_u32_e32 v6, vcc, v16, v6, vcc
	global_load_dwordx2 v[5:6], v[5:6], off
	s_add_i32 s41, s41, 1
	s_cmp_eq_u32 s34, s41
	v_add_u32_e32 v4, s35, v4
	s_waitcnt vmcnt(0)
	v_fma_f64 v[2:3], v[14:15], v[5:6], v[2:3]
	s_cbranch_scc1 .LBB29_9
.LBB29_12:                              ;   Parent Loop BB29_3 Depth=1
                                        ;     Parent Loop BB29_10 Depth=2
                                        ; =>    This Inner Loop Header: Depth=3
	s_and_b64 vcc, exec, s[16:17]
	s_cbranch_vccz .LBB29_14
; %bb.13:                               ;   in Loop: Header=BB29_12 Depth=3
	s_add_i32 s30, s41, s40
	s_mul_i32 s30, s30, s34
	v_add_u32_e32 v5, s30, v13
	s_cbranch_execnz .LBB29_11
	s_branch .LBB29_15
.LBB29_14:                              ;   in Loop: Header=BB29_12 Depth=3
                                        ; implicit-def: $vgpr5
.LBB29_15:                              ;   in Loop: Header=BB29_12 Depth=3
	v_add_u32_e32 v5, s41, v12
	s_branch .LBB29_11
.LBB29_16:                              ;   in Loop: Header=BB29_3 Depth=1
	s_or_b64 exec, exec, s[26:27]
	s_add_i32 s4, s4, 1
	s_cmp_ge_i32 s4, s15
	v_add_u32_e32 v9, s37, v9
	s_cselect_b64 s[26:27], -1, 0
	s_and_b64 vcc, exec, s[26:27]
	s_cbranch_vccz .LBB29_3
	s_branch .LBB29_18
.LBB29_17:
	s_mov_b32 s5, s24
.LBB29_18:
	s_cmp_lt_i32 s6, s24
	s_cselect_b64 s[2:3], -1, 0
	s_cmp_eq_u32 s6, s5
	s_cselect_b64 s[0:1], -1, 0
	v_cmp_gt_i32_e32 vcc, s25, v1
	s_and_b64 s[0:1], vcc, s[0:1]
	s_cmp_gt_i32 s34, 0
	s_cselect_b64 s[16:17], -1, 0
	s_and_b64 s[0:1], s[0:1], s[16:17]
	s_mov_b32 s28, 0
	s_and_b64 s[18:19], s[0:1], s[2:3]
	s_mov_b64 s[0:1], 0
	s_and_saveexec_b64 s[16:17], s[18:19]
	s_cbranch_execz .LBB29_33
; %bb.19:
	v_add_u32_e32 v2, s7, v7
	v_mul_lo_u32 v2, s35, v2
	s_cmp_eq_u32 s13, 0
	s_cselect_b64 s[0:1], -1, 0
	s_cmp_lg_u32 s14, 0
	v_add_u32_e32 v2, s35, v2
	v_add3_u32 v8, v8, v2, s36
	v_cndmask_b32_e64 v2, 0, 1, s[0:1]
	s_cselect_b64 s[14:15], -1, 0
	v_add_u32_e32 v9, 1, v7
	s_mul_i32 s13, s4, s34
	s_lshl_b32 s29, s35, 5
	s_mul_i32 s30, s4, s37
	s_add_i32 s31, s34, 1
	s_mov_b64 s[4:5], 0
	v_cmp_ne_u32_e64 s[0:1], 1, v2
	v_mov_b32_e32 v10, 0
	v_mov_b32_e32 v11, s23
	s_branch .LBB29_21
.LBB29_20:                              ;   in Loop: Header=BB29_21 Depth=1
	s_or_b64 exec, exec, s[18:19]
	s_add_i32 s28, s28, 1
	s_add_i32 s30, s30, s31
	s_cmp_eq_u32 s28, s34
	v_add_u32_e32 v8, s35, v8
	s_cbranch_scc1 .LBB29_32
.LBB29_21:                              ; =>This Loop Header: Depth=1
                                        ;     Child Loop BB29_28 Depth 2
	v_mov_b32_e32 v4, 0
	v_mov_b32_e32 v5, 0x3ff00000
	s_and_b64 vcc, exec, s[0:1]
	s_cbranch_vccnz .LBB29_23
; %bb.22:                               ;   in Loop: Header=BB29_21 Depth=1
	s_add_i32 s18, s28, s13
	s_mul_i32 s18, s18, s34
	s_add_i32 s18, s18, s28
	s_ashr_i32 s19, s18, 31
	s_lshl_b64 s[18:19], s[18:19], 3
	s_add_u32 s18, s10, s18
	s_addc_u32 s19, s11, s19
	global_load_dwordx2 v[4:5], v10, s[18:19]
.LBB29_23:                              ;   in Loop: Header=BB29_21 Depth=1
	s_add_i32 s18, s28, s7
	s_mul_i32 s18, s18, s35
	s_waitcnt vmcnt(0)
	v_add_u32_e32 v2, s18, v1
	v_ashrrev_i32_e32 v3, 31, v2
	v_lshlrev_b64 v[2:3], 3, v[2:3]
	v_add_co_u32_e32 v6, vcc, s22, v2
	v_addc_co_u32_e32 v7, vcc, v11, v3, vcc
	global_load_dwordx2 v[2:3], v[6:7], off
	s_waitcnt vmcnt(1)
	v_cmp_eq_f64_e32 vcc, 0, v[4:5]
	s_cbranch_vccnz .LBB29_25
; %bb.24:                               ;   in Loop: Header=BB29_21 Depth=1
	s_waitcnt vmcnt(0)
	v_div_scale_f64 v[12:13], s[18:19], v[4:5], v[4:5], v[2:3]
	v_div_scale_f64 v[18:19], vcc, v[2:3], v[4:5], v[2:3]
	v_rcp_f64_e32 v[14:15], v[12:13]
	v_fma_f64 v[16:17], -v[12:13], v[14:15], 1.0
	v_fma_f64 v[14:15], v[14:15], v[16:17], v[14:15]
	v_fma_f64 v[16:17], -v[12:13], v[14:15], 1.0
	v_fma_f64 v[14:15], v[14:15], v[16:17], v[14:15]
	v_mul_f64 v[16:17], v[18:19], v[14:15]
	v_fma_f64 v[12:13], -v[12:13], v[16:17], v[18:19]
	v_div_fmas_f64 v[12:13], v[12:13], v[14:15], v[16:17]
	v_div_fixup_f64 v[2:3], v[12:13], v[4:5], v[2:3]
	global_store_dwordx2 v[6:7], v[2:3], off
	v_add_u32_e32 v7, s28, v9
	v_cmp_gt_i32_e32 vcc, s34, v7
	s_and_saveexec_b64 s[18:19], vcc
	s_cbranch_execz .LBB29_20
	s_branch .LBB29_26
.LBB29_25:                              ;   in Loop: Header=BB29_21 Depth=1
	s_mov_b64 s[4:5], -1
	v_add_u32_e32 v7, s28, v9
	v_cmp_gt_i32_e32 vcc, s34, v7
	s_and_saveexec_b64 s[18:19], vcc
	s_cbranch_execz .LBB29_20
.LBB29_26:                              ;   in Loop: Header=BB29_21 Depth=1
	s_mov_b64 s[24:25], 0
	v_mov_b32_e32 v4, v8
	v_mov_b32_e32 v12, v9
	s_branch .LBB29_28
.LBB29_27:                              ;   in Loop: Header=BB29_28 Depth=2
	v_ashrrev_i32_e32 v6, 31, v5
	v_lshlrev_b64 v[5:6], 3, v[5:6]
	v_mov_b32_e32 v13, s11
	v_add_co_u32_e32 v5, vcc, s10, v5
	v_addc_co_u32_e32 v6, vcc, v13, v6, vcc
	global_load_dwordx2 v[13:14], v[5:6], off
	v_ashrrev_i32_e32 v5, 31, v4
	v_lshlrev_b64 v[5:6], 3, v[4:5]
	v_mov_b32_e32 v15, s23
	v_add_co_u32_e32 v5, vcc, s22, v5
	v_addc_co_u32_e32 v6, vcc, v15, v6, vcc
	global_load_dwordx2 v[15:16], v[5:6], off
	v_add_u32_e32 v12, 32, v12
	v_add_u32_e32 v7, 32, v7
	;; [unrolled: 1-line block ×3, first 2 shown]
	s_waitcnt vmcnt(0)
	v_fma_f64 v[13:14], -v[2:3], v[13:14], v[15:16]
	v_add_u32_e32 v15, s28, v12
	v_cmp_le_i32_e32 vcc, s34, v15
	s_or_b64 s[24:25], vcc, s[24:25]
	global_store_dwordx2 v[5:6], v[13:14], off
	s_andn2_b64 exec, exec, s[24:25]
	s_cbranch_execz .LBB29_20
.LBB29_28:                              ;   Parent Loop BB29_21 Depth=1
                                        ; =>  This Inner Loop Header: Depth=2
	s_and_b64 vcc, exec, s[14:15]
	s_cbranch_vccz .LBB29_30
; %bb.29:                               ;   in Loop: Header=BB29_28 Depth=2
	v_add_u32_e32 v5, s30, v12
	s_cbranch_execnz .LBB29_27
	s_branch .LBB29_31
.LBB29_30:                              ;   in Loop: Header=BB29_28 Depth=2
                                        ; implicit-def: $vgpr5
.LBB29_31:                              ;   in Loop: Header=BB29_28 Depth=2
	v_add_u32_e32 v5, s13, v7
	v_mul_lo_u32 v5, v5, s34
	v_add_u32_e32 v5, s28, v5
	s_branch .LBB29_27
.LBB29_32:
	s_and_b64 s[0:1], s[4:5], exec
.LBB29_33:
	s_or_b64 exec, exec, s[16:17]
	v_cmp_eq_u32_e32 vcc, 0, v0
	s_and_b64 s[2:3], vcc, s[2:3]
	s_waitcnt vmcnt(0)
	buffer_wbinvl1_vol
	s_barrier
	s_and_saveexec_b64 s[4:5], s[2:3]
	s_cbranch_execz .LBB29_37
; %bb.34:
	s_add_i32 s2, s6, s33
	s_ashr_i32 s3, s2, 31
	s_lshl_b64 s[2:3], s[2:3], 2
	s_add_u32 s2, s8, s2
	s_addc_u32 s3, s9, s3
	v_mov_b32_e32 v0, 0
	v_mov_b32_e32 v1, 1
	global_store_dword v0, v1, s[2:3]
	s_and_b64 exec, exec, s[0:1]
	s_cbranch_execz .LBB29_37
; %bb.35:
	v_mbcnt_lo_u32_b32 v0, exec_lo, 0
	v_mbcnt_hi_u32_b32 v0, exec_hi, v0
	v_cmp_eq_u32_e32 vcc, 0, v0
	s_and_b64 exec, exec, vcc
	s_cbranch_execz .LBB29_37
; %bb.36:
	s_add_i32 s0, s6, s12
	v_mov_b32_e32 v0, 0
	v_mov_b32_e32 v1, s0
	global_atomic_smin v0, v1, s[20:21]
.LBB29_37:
	s_endpgm
	.section	.rodata,"a",@progbits
	.p2align	6, 0x0
	.amdhsa_kernel _ZN9rocsparseL24bsrsm_lower_large_kernelILj512ELj16ELb0EdEEviiPKiS2_PKT2_iPS3_iPiS2_S7_21rocsparse_index_base_20rocsparse_diag_type_20rocsparse_direction_
		.amdhsa_group_segment_fixed_size 0
		.amdhsa_private_segment_fixed_size 0
		.amdhsa_kernarg_size 92
		.amdhsa_user_sgpr_count 6
		.amdhsa_user_sgpr_private_segment_buffer 1
		.amdhsa_user_sgpr_dispatch_ptr 0
		.amdhsa_user_sgpr_queue_ptr 0
		.amdhsa_user_sgpr_kernarg_segment_ptr 1
		.amdhsa_user_sgpr_dispatch_id 0
		.amdhsa_user_sgpr_flat_scratch_init 0
		.amdhsa_user_sgpr_private_segment_size 0
		.amdhsa_uses_dynamic_stack 0
		.amdhsa_system_sgpr_private_segment_wavefront_offset 0
		.amdhsa_system_sgpr_workgroup_id_x 1
		.amdhsa_system_sgpr_workgroup_id_y 0
		.amdhsa_system_sgpr_workgroup_id_z 0
		.amdhsa_system_sgpr_workgroup_info 0
		.amdhsa_system_vgpr_workitem_id 0
		.amdhsa_next_free_vgpr 20
		.amdhsa_next_free_sgpr 42
		.amdhsa_reserve_vcc 1
		.amdhsa_reserve_flat_scratch 0
		.amdhsa_float_round_mode_32 0
		.amdhsa_float_round_mode_16_64 0
		.amdhsa_float_denorm_mode_32 3
		.amdhsa_float_denorm_mode_16_64 3
		.amdhsa_dx10_clamp 1
		.amdhsa_ieee_mode 1
		.amdhsa_fp16_overflow 0
		.amdhsa_exception_fp_ieee_invalid_op 0
		.amdhsa_exception_fp_denorm_src 0
		.amdhsa_exception_fp_ieee_div_zero 0
		.amdhsa_exception_fp_ieee_overflow 0
		.amdhsa_exception_fp_ieee_underflow 0
		.amdhsa_exception_fp_ieee_inexact 0
		.amdhsa_exception_int_div_zero 0
	.end_amdhsa_kernel
	.section	.text._ZN9rocsparseL24bsrsm_lower_large_kernelILj512ELj16ELb0EdEEviiPKiS2_PKT2_iPS3_iPiS2_S7_21rocsparse_index_base_20rocsparse_diag_type_20rocsparse_direction_,"axG",@progbits,_ZN9rocsparseL24bsrsm_lower_large_kernelILj512ELj16ELb0EdEEviiPKiS2_PKT2_iPS3_iPiS2_S7_21rocsparse_index_base_20rocsparse_diag_type_20rocsparse_direction_,comdat
.Lfunc_end29:
	.size	_ZN9rocsparseL24bsrsm_lower_large_kernelILj512ELj16ELb0EdEEviiPKiS2_PKT2_iPS3_iPiS2_S7_21rocsparse_index_base_20rocsparse_diag_type_20rocsparse_direction_, .Lfunc_end29-_ZN9rocsparseL24bsrsm_lower_large_kernelILj512ELj16ELb0EdEEviiPKiS2_PKT2_iPS3_iPiS2_S7_21rocsparse_index_base_20rocsparse_diag_type_20rocsparse_direction_
                                        ; -- End function
	.set _ZN9rocsparseL24bsrsm_lower_large_kernelILj512ELj16ELb0EdEEviiPKiS2_PKT2_iPS3_iPiS2_S7_21rocsparse_index_base_20rocsparse_diag_type_20rocsparse_direction_.num_vgpr, 20
	.set _ZN9rocsparseL24bsrsm_lower_large_kernelILj512ELj16ELb0EdEEviiPKiS2_PKT2_iPS3_iPiS2_S7_21rocsparse_index_base_20rocsparse_diag_type_20rocsparse_direction_.num_agpr, 0
	.set _ZN9rocsparseL24bsrsm_lower_large_kernelILj512ELj16ELb0EdEEviiPKiS2_PKT2_iPS3_iPiS2_S7_21rocsparse_index_base_20rocsparse_diag_type_20rocsparse_direction_.numbered_sgpr, 42
	.set _ZN9rocsparseL24bsrsm_lower_large_kernelILj512ELj16ELb0EdEEviiPKiS2_PKT2_iPS3_iPiS2_S7_21rocsparse_index_base_20rocsparse_diag_type_20rocsparse_direction_.num_named_barrier, 0
	.set _ZN9rocsparseL24bsrsm_lower_large_kernelILj512ELj16ELb0EdEEviiPKiS2_PKT2_iPS3_iPiS2_S7_21rocsparse_index_base_20rocsparse_diag_type_20rocsparse_direction_.private_seg_size, 0
	.set _ZN9rocsparseL24bsrsm_lower_large_kernelILj512ELj16ELb0EdEEviiPKiS2_PKT2_iPS3_iPiS2_S7_21rocsparse_index_base_20rocsparse_diag_type_20rocsparse_direction_.uses_vcc, 1
	.set _ZN9rocsparseL24bsrsm_lower_large_kernelILj512ELj16ELb0EdEEviiPKiS2_PKT2_iPS3_iPiS2_S7_21rocsparse_index_base_20rocsparse_diag_type_20rocsparse_direction_.uses_flat_scratch, 0
	.set _ZN9rocsparseL24bsrsm_lower_large_kernelILj512ELj16ELb0EdEEviiPKiS2_PKT2_iPS3_iPiS2_S7_21rocsparse_index_base_20rocsparse_diag_type_20rocsparse_direction_.has_dyn_sized_stack, 0
	.set _ZN9rocsparseL24bsrsm_lower_large_kernelILj512ELj16ELb0EdEEviiPKiS2_PKT2_iPS3_iPiS2_S7_21rocsparse_index_base_20rocsparse_diag_type_20rocsparse_direction_.has_recursion, 0
	.set _ZN9rocsparseL24bsrsm_lower_large_kernelILj512ELj16ELb0EdEEviiPKiS2_PKT2_iPS3_iPiS2_S7_21rocsparse_index_base_20rocsparse_diag_type_20rocsparse_direction_.has_indirect_call, 0
	.section	.AMDGPU.csdata,"",@progbits
; Kernel info:
; codeLenInByte = 1504
; TotalNumSgprs: 46
; NumVgprs: 20
; ScratchSize: 0
; MemoryBound: 0
; FloatMode: 240
; IeeeMode: 1
; LDSByteSize: 0 bytes/workgroup (compile time only)
; SGPRBlocks: 5
; VGPRBlocks: 4
; NumSGPRsForWavesPerEU: 46
; NumVGPRsForWavesPerEU: 20
; Occupancy: 10
; WaveLimiterHint : 1
; COMPUTE_PGM_RSRC2:SCRATCH_EN: 0
; COMPUTE_PGM_RSRC2:USER_SGPR: 6
; COMPUTE_PGM_RSRC2:TRAP_HANDLER: 0
; COMPUTE_PGM_RSRC2:TGID_X_EN: 1
; COMPUTE_PGM_RSRC2:TGID_Y_EN: 0
; COMPUTE_PGM_RSRC2:TGID_Z_EN: 0
; COMPUTE_PGM_RSRC2:TIDIG_COMP_CNT: 0
	.section	.text._ZN9rocsparseL24bsrsm_upper_large_kernelILj1024ELj16ELb0EdEEviiPKiS2_PKT2_iPS3_iPiS2_S7_21rocsparse_index_base_20rocsparse_diag_type_20rocsparse_direction_,"axG",@progbits,_ZN9rocsparseL24bsrsm_upper_large_kernelILj1024ELj16ELb0EdEEviiPKiS2_PKT2_iPS3_iPiS2_S7_21rocsparse_index_base_20rocsparse_diag_type_20rocsparse_direction_,comdat
	.globl	_ZN9rocsparseL24bsrsm_upper_large_kernelILj1024ELj16ELb0EdEEviiPKiS2_PKT2_iPS3_iPiS2_S7_21rocsparse_index_base_20rocsparse_diag_type_20rocsparse_direction_ ; -- Begin function _ZN9rocsparseL24bsrsm_upper_large_kernelILj1024ELj16ELb0EdEEviiPKiS2_PKT2_iPS3_iPiS2_S7_21rocsparse_index_base_20rocsparse_diag_type_20rocsparse_direction_
	.p2align	8
	.type	_ZN9rocsparseL24bsrsm_upper_large_kernelILj1024ELj16ELb0EdEEviiPKiS2_PKT2_iPS3_iPiS2_S7_21rocsparse_index_base_20rocsparse_diag_type_20rocsparse_direction_,@function
_ZN9rocsparseL24bsrsm_upper_large_kernelILj1024ELj16ELb0EdEEviiPKiS2_PKT2_iPS3_iPiS2_S7_21rocsparse_index_base_20rocsparse_diag_type_20rocsparse_direction_: ; @_ZN9rocsparseL24bsrsm_upper_large_kernelILj1024ELj16ELb0EdEEviiPKiS2_PKT2_iPS3_iPiS2_S7_21rocsparse_index_base_20rocsparse_diag_type_20rocsparse_direction_
; %bb.0:
	s_load_dwordx2 s[24:25], s[4:5], 0x0
	s_load_dwordx4 s[16:19], s[4:5], 0x8
	s_load_dwordx4 s[8:11], s[4:5], 0x38
	s_load_dwordx2 s[20:21], s[4:5], 0x48
	v_lshrrev_b32_e32 v7, 6, v0
	v_and_b32_e32 v8, 63, v0
	s_waitcnt lgkmcnt(0)
	v_cvt_f32_u32_e32 v1, s24
	s_sub_i32 s0, 0, s24
	v_rcp_iflag_f32_e32 v1, v1
	v_mul_f32_e32 v1, 0x4f7ffffe, v1
	v_cvt_u32_f32_e32 v1, v1
	v_readfirstlane_b32 s1, v1
	s_mul_i32 s0, s0, s1
	s_mul_hi_u32 s0, s1, s0
	s_add_i32 s1, s1, s0
	s_mul_hi_u32 s0, s6, s1
	s_mul_i32 s1, s0, s24
	s_sub_i32 s1, s6, s1
	s_add_i32 s2, s0, 1
	s_sub_i32 s3, s1, s24
	s_cmp_ge_u32 s1, s24
	s_cselect_b32 s0, s2, s0
	s_cselect_b32 s1, s3, s1
	s_add_i32 s2, s0, 1
	s_cmp_ge_u32 s1, s24
	s_cselect_b32 s26, s2, s0
	s_mul_i32 s33, s26, s24
	s_sub_i32 s0, s6, s33
	s_ashr_i32 s1, s0, 31
	s_lshl_b64 s[0:1], s[0:1], 2
	s_add_u32 s0, s10, s0
	s_addc_u32 s1, s11, s1
	s_load_dword s6, s[0:1], 0x0
	s_load_dwordx2 s[10:11], s[4:5], 0x18
	s_load_dword s34, s[4:5], 0x20
	s_load_dwordx2 s[22:23], s[4:5], 0x28
	s_load_dword s35, s[4:5], 0x30
	s_load_dwordx4 s[12:15], s[4:5], 0x50
	s_waitcnt lgkmcnt(0)
	s_ashr_i32 s7, s6, 31
	s_lshl_b64 s[0:1], s[6:7], 2
	s_add_u32 s0, s16, s0
	s_addc_u32 s1, s17, s1
	s_load_dwordx2 s[2:3], s[0:1], 0x0
	s_lshl_b32 s36, s26, 4
	s_not_b32 s0, s12
	v_or_b32_e32 v1, s36, v7
	v_cmp_gt_i32_e32 vcc, s25, v1
	s_waitcnt lgkmcnt(0)
	s_sub_i32 s15, s2, s12
	s_add_i32 s4, s3, s0
	s_cmp_lt_i32 s4, s15
	s_mul_i32 s7, s6, s34
	v_cmp_eq_u32_e64 s[0:1], 0, v0
	s_cbranch_scc1 .LBB30_17
; %bb.1:
	s_mul_i32 s5, s34, s4
	v_add_u32_e32 v2, s5, v8
	v_mul_lo_u32 v10, s34, v2
	v_cmp_gt_i32_e64 s[2:3], s34, v8
	s_cmp_lg_u32 s14, 0
	s_cselect_b64 s[16:17], -1, 0
	s_and_b64 s[2:3], vcc, s[2:3]
	v_add_u32_e32 v9, s36, v7
	s_mul_i32 s37, s35, s34
	s_mul_i32 s38, s34, s34
	s_lshl_b32 s39, s34, 6
	v_mov_b32_e32 v11, 0
	s_branch .LBB30_3
.LBB30_2:                               ;   in Loop: Header=BB30_3 Depth=1
                                        ; implicit-def: $vgpr10
	s_and_b64 vcc, exec, s[26:27]
	s_cbranch_vccnz .LBB30_18
.LBB30_3:                               ; =>This Loop Header: Depth=1
                                        ;     Child Loop BB30_6 Depth 2
                                        ;     Child Loop BB30_10 Depth 2
                                        ;       Child Loop BB30_12 Depth 3
	s_ashr_i32 s5, s4, 31
	s_lshl_b64 s[26:27], s[4:5], 2
	s_add_u32 s26, s18, s26
	s_addc_u32 s27, s19, s27
	global_load_dword v2, v11, s[26:27]
	s_mov_b64 s[26:27], -1
	s_waitcnt vmcnt(0)
	v_readfirstlane_b32 s5, v2
	s_sub_i32 s5, s5, s12
	s_cmp_le_i32 s5, s6
	s_cbranch_scc1 .LBB30_2
; %bb.4:                                ;   in Loop: Header=BB30_3 Depth=1
	s_and_saveexec_b64 s[26:27], s[0:1]
	s_cbranch_execz .LBB30_7
; %bb.5:                                ;   in Loop: Header=BB30_3 Depth=1
	s_add_i32 s28, s5, s33
	s_ashr_i32 s29, s28, 31
	s_lshl_b64 s[28:29], s[28:29], 2
	s_add_u32 s28, s8, s28
	s_addc_u32 s29, s9, s29
	global_load_dword v2, v11, s[28:29] glc
	s_waitcnt vmcnt(0)
	v_cmp_ne_u32_e32 vcc, 0, v2
	s_cbranch_vccnz .LBB30_7
.LBB30_6:                               ;   Parent Loop BB30_3 Depth=1
                                        ; =>  This Inner Loop Header: Depth=2
	global_load_dword v2, v11, s[28:29] glc
	s_waitcnt vmcnt(0)
	v_cmp_eq_u32_e32 vcc, 0, v2
	s_cbranch_vccnz .LBB30_6
.LBB30_7:                               ;   in Loop: Header=BB30_3 Depth=1
	s_or_b64 exec, exec, s[26:27]
	buffer_wbinvl1_vol
	s_barrier
	s_and_saveexec_b64 s[26:27], s[2:3]
	s_cbranch_execz .LBB30_16
; %bb.8:                                ;   in Loop: Header=BB30_3 Depth=1
	s_mul_i32 s28, s37, s5
	s_mul_i32 s40, s4, s34
	v_add_u32_e32 v12, s28, v9
	s_mov_b64 s[28:29], 0
	v_mov_b32_e32 v13, v10
	v_mov_b32_e32 v14, v8
	s_branch .LBB30_10
.LBB30_9:                               ;   in Loop: Header=BB30_10 Depth=2
	v_add_u32_e32 v4, s7, v14
	v_mad_u64_u32 v[4:5], s[30:31], v4, s35, v[1:2]
	v_mov_b32_e32 v6, s23
	v_add_u32_e32 v14, 64, v14
	v_ashrrev_i32_e32 v5, 31, v4
	v_lshlrev_b64 v[4:5], 3, v[4:5]
	v_add_u32_e32 v13, s39, v13
	v_add_co_u32_e32 v4, vcc, s22, v4
	v_addc_co_u32_e32 v5, vcc, v6, v5, vcc
	global_load_dwordx2 v[15:16], v[4:5], off
	v_cmp_le_i32_e32 vcc, s34, v14
	s_or_b64 s[28:29], vcc, s[28:29]
	s_waitcnt vmcnt(0)
	v_add_f64 v[2:3], v[15:16], -v[2:3]
	global_store_dwordx2 v[4:5], v[2:3], off
	s_andn2_b64 exec, exec, s[28:29]
	s_cbranch_execz .LBB30_16
.LBB30_10:                              ;   Parent Loop BB30_3 Depth=1
                                        ; =>  This Loop Header: Depth=2
                                        ;       Child Loop BB30_12 Depth 3
	v_mov_b32_e32 v2, 0
	v_mov_b32_e32 v3, 0
	s_mov_b32 s41, 0
	v_mov_b32_e32 v4, v12
	s_branch .LBB30_12
.LBB30_11:                              ;   in Loop: Header=BB30_12 Depth=3
	v_ashrrev_i32_e32 v6, 31, v5
	v_lshlrev_b64 v[5:6], 3, v[5:6]
	v_mov_b32_e32 v15, s11
	v_add_co_u32_e32 v5, vcc, s10, v5
	v_addc_co_u32_e32 v6, vcc, v15, v6, vcc
	global_load_dwordx2 v[15:16], v[5:6], off
	v_ashrrev_i32_e32 v5, 31, v4
	v_lshlrev_b64 v[5:6], 3, v[4:5]
	v_mov_b32_e32 v17, s23
	v_add_co_u32_e32 v5, vcc, s22, v5
	v_addc_co_u32_e32 v6, vcc, v17, v6, vcc
	global_load_dwordx2 v[5:6], v[5:6], off
	s_add_i32 s41, s41, 1
	s_cmp_eq_u32 s34, s41
	v_add_u32_e32 v4, s35, v4
	s_waitcnt vmcnt(0)
	v_fma_f64 v[2:3], v[15:16], v[5:6], v[2:3]
	s_cbranch_scc1 .LBB30_9
.LBB30_12:                              ;   Parent Loop BB30_3 Depth=1
                                        ;     Parent Loop BB30_10 Depth=2
                                        ; =>    This Inner Loop Header: Depth=3
	s_and_b64 vcc, exec, s[16:17]
	s_cbranch_vccz .LBB30_14
; %bb.13:                               ;   in Loop: Header=BB30_12 Depth=3
	s_add_i32 s30, s41, s40
	s_mul_i32 s30, s30, s34
	v_add_u32_e32 v5, s30, v14
	s_cbranch_execnz .LBB30_11
	s_branch .LBB30_15
.LBB30_14:                              ;   in Loop: Header=BB30_12 Depth=3
                                        ; implicit-def: $vgpr5
.LBB30_15:                              ;   in Loop: Header=BB30_12 Depth=3
	v_add_u32_e32 v5, s41, v13
	s_branch .LBB30_11
.LBB30_16:                              ;   in Loop: Header=BB30_3 Depth=1
	s_or_b64 exec, exec, s[26:27]
	s_add_i32 s28, s4, -1
	s_cmp_le_i32 s4, s15
	v_subrev_u32_e32 v10, s38, v10
	s_cselect_b64 s[26:27], -1, 0
	s_mov_b32 s4, s28
	s_and_b64 vcc, exec, s[26:27]
	s_cbranch_vccz .LBB30_3
	s_branch .LBB30_18
.LBB30_17:
	s_mov_b32 s5, s24
.LBB30_18:
	s_cmp_lt_i32 s6, s24
	s_cselect_b64 s[2:3], -1, 0
	s_cmp_eq_u32 s6, s5
	s_cselect_b64 s[0:1], -1, 0
	s_and_b64 s[0:1], s[2:3], s[0:1]
	v_cmp_gt_i32_e32 vcc, s25, v1
	s_and_b64 s[0:1], s[0:1], vcc
	s_cmp_gt_i32 s34, 0
	s_cselect_b64 s[16:17], -1, 0
	s_and_b64 s[18:19], s[0:1], s[16:17]
	s_mov_b64 s[0:1], 0
	s_and_saveexec_b64 s[16:17], s[18:19]
	s_cbranch_execz .LBB30_35
; %bb.19:
	v_add_u32_e32 v2, s7, v8
	s_cmp_eq_u32 s13, 0
	v_mul_lo_u32 v2, s35, v2
	s_cselect_b64 s[0:1], -1, 0
	s_cmp_lg_u32 s14, 0
	s_cselect_b64 s[14:15], -1, 0
	s_mul_i32 s13, s4, s34
	s_add_i32 s4, s4, 1
	s_mul_i32 s4, s34, s4
	v_add3_u32 v9, v7, v2, s36
	s_add_i32 s4, s4, -1
	v_cndmask_b32_e64 v2, 0, 1, s[0:1]
	s_lshl_b32 s28, s35, 6
	s_mul_i32 s29, s34, s4
	s_mov_b64 s[4:5], 0
	v_cmp_ne_u32_e64 s[0:1], 1, v2
	v_mov_b32_e32 v10, 0
	v_mov_b32_e32 v11, s23
	s_mov_b32 s30, s34
.LBB30_20:                              ; =>This Loop Header: Depth=1
                                        ;     Child Loop BB30_27 Depth 2
	v_mov_b32_e32 v4, 0
	v_mov_b32_e32 v5, 0x3ff00000
	s_and_b64 vcc, exec, s[0:1]
	s_add_i32 s31, s30, -1
	s_cbranch_vccnz .LBB30_22
; %bb.21:                               ;   in Loop: Header=BB30_20 Depth=1
	s_add_i32 s18, s31, s13
	s_mul_i32 s18, s18, s34
	s_add_i32 s18, s18, s31
	s_ashr_i32 s19, s18, 31
	s_lshl_b64 s[18:19], s[18:19], 3
	s_add_u32 s18, s10, s18
	s_addc_u32 s19, s11, s19
	global_load_dwordx2 v[4:5], v10, s[18:19]
.LBB30_22:                              ;   in Loop: Header=BB30_20 Depth=1
	s_add_i32 s18, s31, s7
	s_mul_i32 s18, s18, s35
	s_waitcnt vmcnt(0)
	v_add_u32_e32 v2, s18, v1
	v_ashrrev_i32_e32 v3, 31, v2
	v_lshlrev_b64 v[2:3], 3, v[2:3]
	v_add_co_u32_e32 v6, vcc, s22, v2
	v_addc_co_u32_e32 v7, vcc, v11, v3, vcc
	global_load_dwordx2 v[2:3], v[6:7], off
	s_waitcnt vmcnt(1)
	v_cmp_eq_f64_e32 vcc, 0, v[4:5]
	s_cbranch_vccnz .LBB30_24
; %bb.23:                               ;   in Loop: Header=BB30_20 Depth=1
	s_waitcnt vmcnt(0)
	v_div_scale_f64 v[12:13], s[18:19], v[4:5], v[4:5], v[2:3]
	v_div_scale_f64 v[18:19], vcc, v[2:3], v[4:5], v[2:3]
	v_rcp_f64_e32 v[14:15], v[12:13]
	v_fma_f64 v[16:17], -v[12:13], v[14:15], 1.0
	v_fma_f64 v[14:15], v[14:15], v[16:17], v[14:15]
	v_fma_f64 v[16:17], -v[12:13], v[14:15], 1.0
	v_fma_f64 v[14:15], v[14:15], v[16:17], v[14:15]
	v_mul_f64 v[16:17], v[18:19], v[14:15]
	v_fma_f64 v[12:13], -v[12:13], v[16:17], v[18:19]
	v_div_fmas_f64 v[12:13], v[12:13], v[14:15], v[16:17]
	v_div_fixup_f64 v[2:3], v[12:13], v[4:5], v[2:3]
	global_store_dwordx2 v[6:7], v[2:3], off
	v_cmp_gt_i32_e32 vcc, s31, v8
	s_and_saveexec_b64 s[18:19], vcc
	s_cbranch_execnz .LBB30_25
	s_branch .LBB30_31
.LBB30_24:                              ;   in Loop: Header=BB30_20 Depth=1
	s_mov_b64 s[4:5], -1
	v_cmp_gt_i32_e32 vcc, s31, v8
	s_and_saveexec_b64 s[18:19], vcc
	s_cbranch_execz .LBB30_31
.LBB30_25:                              ;   in Loop: Header=BB30_20 Depth=1
	s_mov_b64 s[24:25], 0
	v_mov_b32_e32 v4, v9
	v_mov_b32_e32 v7, v8
	s_branch .LBB30_27
.LBB30_26:                              ;   in Loop: Header=BB30_27 Depth=2
	v_ashrrev_i32_e32 v6, 31, v5
	v_lshlrev_b64 v[5:6], 3, v[5:6]
	v_mov_b32_e32 v12, s11
	v_add_co_u32_e32 v5, vcc, s10, v5
	v_addc_co_u32_e32 v6, vcc, v12, v6, vcc
	global_load_dwordx2 v[12:13], v[5:6], off
	v_ashrrev_i32_e32 v5, 31, v4
	v_lshlrev_b64 v[5:6], 3, v[4:5]
	v_mov_b32_e32 v14, s23
	v_add_co_u32_e32 v5, vcc, s22, v5
	v_addc_co_u32_e32 v6, vcc, v14, v6, vcc
	global_load_dwordx2 v[14:15], v[5:6], off
	v_add_u32_e32 v7, 64, v7
	v_cmp_le_i32_e32 vcc, s31, v7
	s_or_b64 s[24:25], vcc, s[24:25]
	v_add_u32_e32 v4, s28, v4
	s_waitcnt vmcnt(0)
	v_fma_f64 v[12:13], -v[2:3], v[12:13], v[14:15]
	global_store_dwordx2 v[5:6], v[12:13], off
	s_andn2_b64 exec, exec, s[24:25]
	s_cbranch_execz .LBB30_31
.LBB30_27:                              ;   Parent Loop BB30_20 Depth=1
                                        ; =>  This Inner Loop Header: Depth=2
	s_and_b64 vcc, exec, s[14:15]
	s_cbranch_vccz .LBB30_29
; %bb.28:                               ;   in Loop: Header=BB30_27 Depth=2
	v_add_u32_e32 v5, s29, v7
	s_cbranch_execnz .LBB30_26
	s_branch .LBB30_30
.LBB30_29:                              ;   in Loop: Header=BB30_27 Depth=2
                                        ; implicit-def: $vgpr5
.LBB30_30:                              ;   in Loop: Header=BB30_27 Depth=2
	v_add_u32_e32 v5, s13, v7
	v_mul_lo_u32 v5, v5, s34
	v_add_u32_e32 v5, s31, v5
	s_branch .LBB30_26
.LBB30_31:                              ;   in Loop: Header=BB30_20 Depth=1
	s_or_b64 exec, exec, s[18:19]
; %bb.32:                               ;   in Loop: Header=BB30_20 Depth=1
	s_sub_i32 s29, s29, s34
	s_cmp_lt_i32 s30, 2
	s_cbranch_scc1 .LBB30_34
; %bb.33:                               ;   in Loop: Header=BB30_20 Depth=1
	s_mov_b32 s30, s31
	s_branch .LBB30_20
.LBB30_34:
	s_and_b64 s[0:1], s[4:5], exec
.LBB30_35:
	s_or_b64 exec, exec, s[16:17]
	v_cmp_eq_u32_e32 vcc, 0, v0
	s_and_b64 s[2:3], vcc, s[2:3]
	s_waitcnt vmcnt(0)
	buffer_wbinvl1_vol
	s_barrier
	s_and_saveexec_b64 s[4:5], s[2:3]
	s_cbranch_execz .LBB30_39
; %bb.36:
	s_add_i32 s2, s6, s33
	s_ashr_i32 s3, s2, 31
	s_lshl_b64 s[2:3], s[2:3], 2
	s_add_u32 s2, s8, s2
	s_addc_u32 s3, s9, s3
	v_mov_b32_e32 v0, 0
	v_mov_b32_e32 v1, 1
	global_store_dword v0, v1, s[2:3]
	s_and_b64 exec, exec, s[0:1]
	s_cbranch_execz .LBB30_39
; %bb.37:
	v_mbcnt_lo_u32_b32 v0, exec_lo, 0
	v_mbcnt_hi_u32_b32 v0, exec_hi, v0
	v_cmp_eq_u32_e32 vcc, 0, v0
	s_and_b64 exec, exec, vcc
	s_cbranch_execz .LBB30_39
; %bb.38:
	s_add_i32 s0, s6, s12
	v_mov_b32_e32 v0, 0
	v_mov_b32_e32 v1, s0
	global_atomic_smin v0, v1, s[20:21]
.LBB30_39:
	s_endpgm
	.section	.rodata,"a",@progbits
	.p2align	6, 0x0
	.amdhsa_kernel _ZN9rocsparseL24bsrsm_upper_large_kernelILj1024ELj16ELb0EdEEviiPKiS2_PKT2_iPS3_iPiS2_S7_21rocsparse_index_base_20rocsparse_diag_type_20rocsparse_direction_
		.amdhsa_group_segment_fixed_size 0
		.amdhsa_private_segment_fixed_size 0
		.amdhsa_kernarg_size 92
		.amdhsa_user_sgpr_count 6
		.amdhsa_user_sgpr_private_segment_buffer 1
		.amdhsa_user_sgpr_dispatch_ptr 0
		.amdhsa_user_sgpr_queue_ptr 0
		.amdhsa_user_sgpr_kernarg_segment_ptr 1
		.amdhsa_user_sgpr_dispatch_id 0
		.amdhsa_user_sgpr_flat_scratch_init 0
		.amdhsa_user_sgpr_private_segment_size 0
		.amdhsa_uses_dynamic_stack 0
		.amdhsa_system_sgpr_private_segment_wavefront_offset 0
		.amdhsa_system_sgpr_workgroup_id_x 1
		.amdhsa_system_sgpr_workgroup_id_y 0
		.amdhsa_system_sgpr_workgroup_id_z 0
		.amdhsa_system_sgpr_workgroup_info 0
		.amdhsa_system_vgpr_workitem_id 0
		.amdhsa_next_free_vgpr 20
		.amdhsa_next_free_sgpr 42
		.amdhsa_reserve_vcc 1
		.amdhsa_reserve_flat_scratch 0
		.amdhsa_float_round_mode_32 0
		.amdhsa_float_round_mode_16_64 0
		.amdhsa_float_denorm_mode_32 3
		.amdhsa_float_denorm_mode_16_64 3
		.amdhsa_dx10_clamp 1
		.amdhsa_ieee_mode 1
		.amdhsa_fp16_overflow 0
		.amdhsa_exception_fp_ieee_invalid_op 0
		.amdhsa_exception_fp_denorm_src 0
		.amdhsa_exception_fp_ieee_div_zero 0
		.amdhsa_exception_fp_ieee_overflow 0
		.amdhsa_exception_fp_ieee_underflow 0
		.amdhsa_exception_fp_ieee_inexact 0
		.amdhsa_exception_int_div_zero 0
	.end_amdhsa_kernel
	.section	.text._ZN9rocsparseL24bsrsm_upper_large_kernelILj1024ELj16ELb0EdEEviiPKiS2_PKT2_iPS3_iPiS2_S7_21rocsparse_index_base_20rocsparse_diag_type_20rocsparse_direction_,"axG",@progbits,_ZN9rocsparseL24bsrsm_upper_large_kernelILj1024ELj16ELb0EdEEviiPKiS2_PKT2_iPS3_iPiS2_S7_21rocsparse_index_base_20rocsparse_diag_type_20rocsparse_direction_,comdat
.Lfunc_end30:
	.size	_ZN9rocsparseL24bsrsm_upper_large_kernelILj1024ELj16ELb0EdEEviiPKiS2_PKT2_iPS3_iPiS2_S7_21rocsparse_index_base_20rocsparse_diag_type_20rocsparse_direction_, .Lfunc_end30-_ZN9rocsparseL24bsrsm_upper_large_kernelILj1024ELj16ELb0EdEEviiPKiS2_PKT2_iPS3_iPiS2_S7_21rocsparse_index_base_20rocsparse_diag_type_20rocsparse_direction_
                                        ; -- End function
	.set _ZN9rocsparseL24bsrsm_upper_large_kernelILj1024ELj16ELb0EdEEviiPKiS2_PKT2_iPS3_iPiS2_S7_21rocsparse_index_base_20rocsparse_diag_type_20rocsparse_direction_.num_vgpr, 20
	.set _ZN9rocsparseL24bsrsm_upper_large_kernelILj1024ELj16ELb0EdEEviiPKiS2_PKT2_iPS3_iPiS2_S7_21rocsparse_index_base_20rocsparse_diag_type_20rocsparse_direction_.num_agpr, 0
	.set _ZN9rocsparseL24bsrsm_upper_large_kernelILj1024ELj16ELb0EdEEviiPKiS2_PKT2_iPS3_iPiS2_S7_21rocsparse_index_base_20rocsparse_diag_type_20rocsparse_direction_.numbered_sgpr, 42
	.set _ZN9rocsparseL24bsrsm_upper_large_kernelILj1024ELj16ELb0EdEEviiPKiS2_PKT2_iPS3_iPiS2_S7_21rocsparse_index_base_20rocsparse_diag_type_20rocsparse_direction_.num_named_barrier, 0
	.set _ZN9rocsparseL24bsrsm_upper_large_kernelILj1024ELj16ELb0EdEEviiPKiS2_PKT2_iPS3_iPiS2_S7_21rocsparse_index_base_20rocsparse_diag_type_20rocsparse_direction_.private_seg_size, 0
	.set _ZN9rocsparseL24bsrsm_upper_large_kernelILj1024ELj16ELb0EdEEviiPKiS2_PKT2_iPS3_iPiS2_S7_21rocsparse_index_base_20rocsparse_diag_type_20rocsparse_direction_.uses_vcc, 1
	.set _ZN9rocsparseL24bsrsm_upper_large_kernelILj1024ELj16ELb0EdEEviiPKiS2_PKT2_iPS3_iPiS2_S7_21rocsparse_index_base_20rocsparse_diag_type_20rocsparse_direction_.uses_flat_scratch, 0
	.set _ZN9rocsparseL24bsrsm_upper_large_kernelILj1024ELj16ELb0EdEEviiPKiS2_PKT2_iPS3_iPiS2_S7_21rocsparse_index_base_20rocsparse_diag_type_20rocsparse_direction_.has_dyn_sized_stack, 0
	.set _ZN9rocsparseL24bsrsm_upper_large_kernelILj1024ELj16ELb0EdEEviiPKiS2_PKT2_iPS3_iPiS2_S7_21rocsparse_index_base_20rocsparse_diag_type_20rocsparse_direction_.has_recursion, 0
	.set _ZN9rocsparseL24bsrsm_upper_large_kernelILj1024ELj16ELb0EdEEviiPKiS2_PKT2_iPS3_iPiS2_S7_21rocsparse_index_base_20rocsparse_diag_type_20rocsparse_direction_.has_indirect_call, 0
	.section	.AMDGPU.csdata,"",@progbits
; Kernel info:
; codeLenInByte = 1500
; TotalNumSgprs: 46
; NumVgprs: 20
; ScratchSize: 0
; MemoryBound: 0
; FloatMode: 240
; IeeeMode: 1
; LDSByteSize: 0 bytes/workgroup (compile time only)
; SGPRBlocks: 5
; VGPRBlocks: 4
; NumSGPRsForWavesPerEU: 46
; NumVGPRsForWavesPerEU: 20
; Occupancy: 10
; WaveLimiterHint : 1
; COMPUTE_PGM_RSRC2:SCRATCH_EN: 0
; COMPUTE_PGM_RSRC2:USER_SGPR: 6
; COMPUTE_PGM_RSRC2:TRAP_HANDLER: 0
; COMPUTE_PGM_RSRC2:TGID_X_EN: 1
; COMPUTE_PGM_RSRC2:TGID_Y_EN: 0
; COMPUTE_PGM_RSRC2:TGID_Z_EN: 0
; COMPUTE_PGM_RSRC2:TIDIG_COMP_CNT: 0
	.section	.text._ZN9rocsparseL24bsrsm_lower_large_kernelILj1024ELj16ELb0EdEEviiPKiS2_PKT2_iPS3_iPiS2_S7_21rocsparse_index_base_20rocsparse_diag_type_20rocsparse_direction_,"axG",@progbits,_ZN9rocsparseL24bsrsm_lower_large_kernelILj1024ELj16ELb0EdEEviiPKiS2_PKT2_iPS3_iPiS2_S7_21rocsparse_index_base_20rocsparse_diag_type_20rocsparse_direction_,comdat
	.globl	_ZN9rocsparseL24bsrsm_lower_large_kernelILj1024ELj16ELb0EdEEviiPKiS2_PKT2_iPS3_iPiS2_S7_21rocsparse_index_base_20rocsparse_diag_type_20rocsparse_direction_ ; -- Begin function _ZN9rocsparseL24bsrsm_lower_large_kernelILj1024ELj16ELb0EdEEviiPKiS2_PKT2_iPS3_iPiS2_S7_21rocsparse_index_base_20rocsparse_diag_type_20rocsparse_direction_
	.p2align	8
	.type	_ZN9rocsparseL24bsrsm_lower_large_kernelILj1024ELj16ELb0EdEEviiPKiS2_PKT2_iPS3_iPiS2_S7_21rocsparse_index_base_20rocsparse_diag_type_20rocsparse_direction_,@function
_ZN9rocsparseL24bsrsm_lower_large_kernelILj1024ELj16ELb0EdEEviiPKiS2_PKT2_iPS3_iPiS2_S7_21rocsparse_index_base_20rocsparse_diag_type_20rocsparse_direction_: ; @_ZN9rocsparseL24bsrsm_lower_large_kernelILj1024ELj16ELb0EdEEviiPKiS2_PKT2_iPS3_iPiS2_S7_21rocsparse_index_base_20rocsparse_diag_type_20rocsparse_direction_
; %bb.0:
	s_load_dwordx2 s[24:25], s[4:5], 0x0
	s_load_dwordx4 s[16:19], s[4:5], 0x8
	s_load_dwordx4 s[8:11], s[4:5], 0x38
	s_load_dwordx2 s[20:21], s[4:5], 0x48
	v_lshrrev_b32_e32 v8, 6, v0
	v_and_b32_e32 v7, 63, v0
	s_waitcnt lgkmcnt(0)
	v_cvt_f32_u32_e32 v1, s24
	s_sub_i32 s0, 0, s24
	v_rcp_iflag_f32_e32 v1, v1
	v_mul_f32_e32 v1, 0x4f7ffffe, v1
	v_cvt_u32_f32_e32 v1, v1
	v_readfirstlane_b32 s1, v1
	s_mul_i32 s0, s0, s1
	s_mul_hi_u32 s0, s1, s0
	s_add_i32 s1, s1, s0
	s_mul_hi_u32 s0, s6, s1
	s_mul_i32 s1, s0, s24
	s_sub_i32 s1, s6, s1
	s_add_i32 s2, s0, 1
	s_sub_i32 s3, s1, s24
	s_cmp_ge_u32 s1, s24
	s_cselect_b32 s0, s2, s0
	s_cselect_b32 s1, s3, s1
	s_add_i32 s2, s0, 1
	s_cmp_ge_u32 s1, s24
	s_cselect_b32 s26, s2, s0
	s_mul_i32 s33, s26, s24
	s_sub_i32 s0, s6, s33
	s_ashr_i32 s1, s0, 31
	s_lshl_b64 s[0:1], s[0:1], 2
	s_add_u32 s0, s10, s0
	s_addc_u32 s1, s11, s1
	s_load_dword s6, s[0:1], 0x0
	s_load_dwordx2 s[10:11], s[4:5], 0x18
	s_load_dword s34, s[4:5], 0x20
	s_load_dwordx2 s[22:23], s[4:5], 0x28
	s_load_dword s35, s[4:5], 0x30
	s_load_dwordx4 s[12:15], s[4:5], 0x50
	s_waitcnt lgkmcnt(0)
	s_ashr_i32 s7, s6, 31
	s_lshl_b64 s[0:1], s[6:7], 2
	s_add_u32 s0, s16, s0
	s_addc_u32 s1, s17, s1
	s_load_dwordx2 s[2:3], s[0:1], 0x0
	s_lshl_b32 s36, s26, 4
	v_or_b32_e32 v1, s36, v8
	s_mul_i32 s7, s6, s34
	v_cmp_gt_i32_e32 vcc, s25, v1
	s_waitcnt lgkmcnt(0)
	s_sub_i32 s4, s2, s12
	s_cmp_ge_i32 s2, s3
	s_mul_i32 s37, s34, s34
	v_cmp_eq_u32_e64 s[0:1], 0, v0
	s_cbranch_scc1 .LBB31_17
; %bb.1:
	s_mul_i32 s5, s34, s4
	v_add_u32_e32 v2, s5, v7
	v_mul_lo_u32 v10, s34, v2
	s_sub_i32 s15, s3, s12
	v_cmp_gt_i32_e64 s[2:3], s34, v7
	s_cmp_lg_u32 s14, 0
	s_cselect_b64 s[16:17], -1, 0
	s_and_b64 s[2:3], vcc, s[2:3]
	v_add_u32_e32 v9, s36, v8
	s_mul_i32 s38, s35, s34
	s_lshl_b32 s39, s34, 6
	v_mov_b32_e32 v11, 0
	s_branch .LBB31_3
.LBB31_2:                               ;   in Loop: Header=BB31_3 Depth=1
                                        ; implicit-def: $vgpr10
	s_and_b64 vcc, exec, s[26:27]
	s_cbranch_vccnz .LBB31_18
.LBB31_3:                               ; =>This Loop Header: Depth=1
                                        ;     Child Loop BB31_6 Depth 2
                                        ;     Child Loop BB31_10 Depth 2
                                        ;       Child Loop BB31_12 Depth 3
	s_ashr_i32 s5, s4, 31
	s_lshl_b64 s[26:27], s[4:5], 2
	s_add_u32 s26, s18, s26
	s_addc_u32 s27, s19, s27
	global_load_dword v2, v11, s[26:27]
	s_mov_b64 s[26:27], -1
	s_waitcnt vmcnt(0)
	v_readfirstlane_b32 s5, v2
	s_sub_i32 s5, s5, s12
	s_cmp_ge_i32 s5, s6
	s_cbranch_scc1 .LBB31_2
; %bb.4:                                ;   in Loop: Header=BB31_3 Depth=1
	s_and_saveexec_b64 s[26:27], s[0:1]
	s_cbranch_execz .LBB31_7
; %bb.5:                                ;   in Loop: Header=BB31_3 Depth=1
	s_add_i32 s28, s5, s33
	s_ashr_i32 s29, s28, 31
	s_lshl_b64 s[28:29], s[28:29], 2
	s_add_u32 s28, s8, s28
	s_addc_u32 s29, s9, s29
	global_load_dword v2, v11, s[28:29] glc
	s_waitcnt vmcnt(0)
	v_cmp_ne_u32_e32 vcc, 0, v2
	s_cbranch_vccnz .LBB31_7
.LBB31_6:                               ;   Parent Loop BB31_3 Depth=1
                                        ; =>  This Inner Loop Header: Depth=2
	global_load_dword v2, v11, s[28:29] glc
	s_waitcnt vmcnt(0)
	v_cmp_eq_u32_e32 vcc, 0, v2
	s_cbranch_vccnz .LBB31_6
.LBB31_7:                               ;   in Loop: Header=BB31_3 Depth=1
	s_or_b64 exec, exec, s[26:27]
	buffer_wbinvl1_vol
	s_barrier
	s_and_saveexec_b64 s[26:27], s[2:3]
	s_cbranch_execz .LBB31_16
; %bb.8:                                ;   in Loop: Header=BB31_3 Depth=1
	s_mul_i32 s28, s38, s5
	s_mul_i32 s40, s4, s34
	v_add_u32_e32 v12, s28, v9
	s_mov_b64 s[28:29], 0
	v_mov_b32_e32 v13, v10
	v_mov_b32_e32 v14, v7
	s_branch .LBB31_10
.LBB31_9:                               ;   in Loop: Header=BB31_10 Depth=2
	v_add_u32_e32 v4, s7, v14
	v_mad_u64_u32 v[4:5], s[30:31], v4, s35, v[1:2]
	v_mov_b32_e32 v6, s23
	v_add_u32_e32 v14, 64, v14
	v_ashrrev_i32_e32 v5, 31, v4
	v_lshlrev_b64 v[4:5], 3, v[4:5]
	v_add_u32_e32 v13, s39, v13
	v_add_co_u32_e32 v4, vcc, s22, v4
	v_addc_co_u32_e32 v5, vcc, v6, v5, vcc
	global_load_dwordx2 v[15:16], v[4:5], off
	v_cmp_le_i32_e32 vcc, s34, v14
	s_or_b64 s[28:29], vcc, s[28:29]
	s_waitcnt vmcnt(0)
	v_add_f64 v[2:3], v[15:16], -v[2:3]
	global_store_dwordx2 v[4:5], v[2:3], off
	s_andn2_b64 exec, exec, s[28:29]
	s_cbranch_execz .LBB31_16
.LBB31_10:                              ;   Parent Loop BB31_3 Depth=1
                                        ; =>  This Loop Header: Depth=2
                                        ;       Child Loop BB31_12 Depth 3
	v_mov_b32_e32 v2, 0
	v_mov_b32_e32 v3, 0
	s_mov_b32 s41, 0
	v_mov_b32_e32 v4, v12
	s_branch .LBB31_12
.LBB31_11:                              ;   in Loop: Header=BB31_12 Depth=3
	v_ashrrev_i32_e32 v6, 31, v5
	v_lshlrev_b64 v[5:6], 3, v[5:6]
	v_mov_b32_e32 v15, s11
	v_add_co_u32_e32 v5, vcc, s10, v5
	v_addc_co_u32_e32 v6, vcc, v15, v6, vcc
	global_load_dwordx2 v[15:16], v[5:6], off
	v_ashrrev_i32_e32 v5, 31, v4
	v_lshlrev_b64 v[5:6], 3, v[4:5]
	v_mov_b32_e32 v17, s23
	v_add_co_u32_e32 v5, vcc, s22, v5
	v_addc_co_u32_e32 v6, vcc, v17, v6, vcc
	global_load_dwordx2 v[5:6], v[5:6], off
	s_add_i32 s41, s41, 1
	s_cmp_eq_u32 s34, s41
	v_add_u32_e32 v4, s35, v4
	s_waitcnt vmcnt(0)
	v_fma_f64 v[2:3], v[15:16], v[5:6], v[2:3]
	s_cbranch_scc1 .LBB31_9
.LBB31_12:                              ;   Parent Loop BB31_3 Depth=1
                                        ;     Parent Loop BB31_10 Depth=2
                                        ; =>    This Inner Loop Header: Depth=3
	s_and_b64 vcc, exec, s[16:17]
	s_cbranch_vccz .LBB31_14
; %bb.13:                               ;   in Loop: Header=BB31_12 Depth=3
	s_add_i32 s30, s41, s40
	s_mul_i32 s30, s30, s34
	v_add_u32_e32 v5, s30, v14
	s_cbranch_execnz .LBB31_11
	s_branch .LBB31_15
.LBB31_14:                              ;   in Loop: Header=BB31_12 Depth=3
                                        ; implicit-def: $vgpr5
.LBB31_15:                              ;   in Loop: Header=BB31_12 Depth=3
	v_add_u32_e32 v5, s41, v13
	s_branch .LBB31_11
.LBB31_16:                              ;   in Loop: Header=BB31_3 Depth=1
	s_or_b64 exec, exec, s[26:27]
	s_add_i32 s4, s4, 1
	s_cmp_ge_i32 s4, s15
	v_add_u32_e32 v10, s37, v10
	s_cselect_b64 s[26:27], -1, 0
	s_and_b64 vcc, exec, s[26:27]
	s_cbranch_vccz .LBB31_3
	s_branch .LBB31_18
.LBB31_17:
	s_mov_b32 s5, s24
.LBB31_18:
	s_cmp_lt_i32 s6, s24
	s_cselect_b64 s[2:3], -1, 0
	s_cmp_eq_u32 s6, s5
	s_cselect_b64 s[0:1], -1, 0
	s_and_b64 s[0:1], s[2:3], s[0:1]
	v_cmp_gt_i32_e32 vcc, s25, v1
	s_and_b64 s[0:1], s[0:1], vcc
	s_cmp_gt_i32 s34, 0
	s_cselect_b64 s[16:17], -1, 0
	s_mov_b32 s28, 0
	s_and_b64 s[18:19], s[0:1], s[16:17]
	s_mov_b64 s[0:1], 0
	s_and_saveexec_b64 s[16:17], s[18:19]
	s_cbranch_execz .LBB31_33
; %bb.19:
	v_add_u32_e32 v2, s7, v7
	v_mul_lo_u32 v2, s35, v2
	s_cmp_eq_u32 s13, 0
	s_cselect_b64 s[0:1], -1, 0
	s_cmp_lg_u32 s14, 0
	v_add_u32_e32 v2, s35, v2
	v_add3_u32 v8, v8, v2, s36
	v_cndmask_b32_e64 v2, 0, 1, s[0:1]
	s_cselect_b64 s[14:15], -1, 0
	v_add_u32_e32 v9, 1, v7
	s_mul_i32 s13, s4, s34
	s_lshl_b32 s29, s35, 6
	s_mul_i32 s30, s4, s37
	s_add_i32 s31, s34, 1
	s_mov_b64 s[4:5], 0
	v_cmp_ne_u32_e64 s[0:1], 1, v2
	v_mov_b32_e32 v10, 0
	v_mov_b32_e32 v11, s23
	s_branch .LBB31_21
.LBB31_20:                              ;   in Loop: Header=BB31_21 Depth=1
	s_or_b64 exec, exec, s[18:19]
	s_add_i32 s28, s28, 1
	s_add_i32 s30, s30, s31
	s_cmp_eq_u32 s28, s34
	v_add_u32_e32 v8, s35, v8
	s_cbranch_scc1 .LBB31_32
.LBB31_21:                              ; =>This Loop Header: Depth=1
                                        ;     Child Loop BB31_28 Depth 2
	v_mov_b32_e32 v4, 0
	v_mov_b32_e32 v5, 0x3ff00000
	s_and_b64 vcc, exec, s[0:1]
	s_cbranch_vccnz .LBB31_23
; %bb.22:                               ;   in Loop: Header=BB31_21 Depth=1
	s_add_i32 s18, s28, s13
	s_mul_i32 s18, s18, s34
	s_add_i32 s18, s18, s28
	s_ashr_i32 s19, s18, 31
	s_lshl_b64 s[18:19], s[18:19], 3
	s_add_u32 s18, s10, s18
	s_addc_u32 s19, s11, s19
	global_load_dwordx2 v[4:5], v10, s[18:19]
.LBB31_23:                              ;   in Loop: Header=BB31_21 Depth=1
	s_add_i32 s18, s28, s7
	s_mul_i32 s18, s18, s35
	s_waitcnt vmcnt(0)
	v_add_u32_e32 v2, s18, v1
	v_ashrrev_i32_e32 v3, 31, v2
	v_lshlrev_b64 v[2:3], 3, v[2:3]
	v_add_co_u32_e32 v6, vcc, s22, v2
	v_addc_co_u32_e32 v7, vcc, v11, v3, vcc
	global_load_dwordx2 v[2:3], v[6:7], off
	s_waitcnt vmcnt(1)
	v_cmp_eq_f64_e32 vcc, 0, v[4:5]
	s_cbranch_vccnz .LBB31_25
; %bb.24:                               ;   in Loop: Header=BB31_21 Depth=1
	s_waitcnt vmcnt(0)
	v_div_scale_f64 v[12:13], s[18:19], v[4:5], v[4:5], v[2:3]
	v_div_scale_f64 v[18:19], vcc, v[2:3], v[4:5], v[2:3]
	v_rcp_f64_e32 v[14:15], v[12:13]
	v_fma_f64 v[16:17], -v[12:13], v[14:15], 1.0
	v_fma_f64 v[14:15], v[14:15], v[16:17], v[14:15]
	v_fma_f64 v[16:17], -v[12:13], v[14:15], 1.0
	v_fma_f64 v[14:15], v[14:15], v[16:17], v[14:15]
	v_mul_f64 v[16:17], v[18:19], v[14:15]
	v_fma_f64 v[12:13], -v[12:13], v[16:17], v[18:19]
	v_div_fmas_f64 v[12:13], v[12:13], v[14:15], v[16:17]
	v_div_fixup_f64 v[2:3], v[12:13], v[4:5], v[2:3]
	global_store_dwordx2 v[6:7], v[2:3], off
	v_add_u32_e32 v7, s28, v9
	v_cmp_gt_i32_e32 vcc, s34, v7
	s_and_saveexec_b64 s[18:19], vcc
	s_cbranch_execz .LBB31_20
	s_branch .LBB31_26
.LBB31_25:                              ;   in Loop: Header=BB31_21 Depth=1
	s_mov_b64 s[4:5], -1
	v_add_u32_e32 v7, s28, v9
	v_cmp_gt_i32_e32 vcc, s34, v7
	s_and_saveexec_b64 s[18:19], vcc
	s_cbranch_execz .LBB31_20
.LBB31_26:                              ;   in Loop: Header=BB31_21 Depth=1
	s_mov_b64 s[24:25], 0
	v_mov_b32_e32 v4, v8
	v_mov_b32_e32 v12, v9
	s_branch .LBB31_28
.LBB31_27:                              ;   in Loop: Header=BB31_28 Depth=2
	v_ashrrev_i32_e32 v6, 31, v5
	v_lshlrev_b64 v[5:6], 3, v[5:6]
	v_mov_b32_e32 v13, s11
	v_add_co_u32_e32 v5, vcc, s10, v5
	v_addc_co_u32_e32 v6, vcc, v13, v6, vcc
	global_load_dwordx2 v[13:14], v[5:6], off
	v_ashrrev_i32_e32 v5, 31, v4
	v_lshlrev_b64 v[5:6], 3, v[4:5]
	v_mov_b32_e32 v15, s23
	v_add_co_u32_e32 v5, vcc, s22, v5
	v_addc_co_u32_e32 v6, vcc, v15, v6, vcc
	global_load_dwordx2 v[15:16], v[5:6], off
	v_add_u32_e32 v12, 64, v12
	v_add_u32_e32 v7, 64, v7
	;; [unrolled: 1-line block ×3, first 2 shown]
	s_waitcnt vmcnt(0)
	v_fma_f64 v[13:14], -v[2:3], v[13:14], v[15:16]
	v_add_u32_e32 v15, s28, v12
	v_cmp_le_i32_e32 vcc, s34, v15
	s_or_b64 s[24:25], vcc, s[24:25]
	global_store_dwordx2 v[5:6], v[13:14], off
	s_andn2_b64 exec, exec, s[24:25]
	s_cbranch_execz .LBB31_20
.LBB31_28:                              ;   Parent Loop BB31_21 Depth=1
                                        ; =>  This Inner Loop Header: Depth=2
	s_and_b64 vcc, exec, s[14:15]
	s_cbranch_vccz .LBB31_30
; %bb.29:                               ;   in Loop: Header=BB31_28 Depth=2
	v_add_u32_e32 v5, s30, v12
	s_cbranch_execnz .LBB31_27
	s_branch .LBB31_31
.LBB31_30:                              ;   in Loop: Header=BB31_28 Depth=2
                                        ; implicit-def: $vgpr5
.LBB31_31:                              ;   in Loop: Header=BB31_28 Depth=2
	v_add_u32_e32 v5, s13, v7
	v_mul_lo_u32 v5, v5, s34
	v_add_u32_e32 v5, s28, v5
	s_branch .LBB31_27
.LBB31_32:
	s_and_b64 s[0:1], s[4:5], exec
.LBB31_33:
	s_or_b64 exec, exec, s[16:17]
	v_cmp_eq_u32_e32 vcc, 0, v0
	s_and_b64 s[2:3], vcc, s[2:3]
	s_waitcnt vmcnt(0)
	buffer_wbinvl1_vol
	s_barrier
	s_and_saveexec_b64 s[4:5], s[2:3]
	s_cbranch_execz .LBB31_37
; %bb.34:
	s_add_i32 s2, s6, s33
	s_ashr_i32 s3, s2, 31
	s_lshl_b64 s[2:3], s[2:3], 2
	s_add_u32 s2, s8, s2
	s_addc_u32 s3, s9, s3
	v_mov_b32_e32 v0, 0
	v_mov_b32_e32 v1, 1
	global_store_dword v0, v1, s[2:3]
	s_and_b64 exec, exec, s[0:1]
	s_cbranch_execz .LBB31_37
; %bb.35:
	v_mbcnt_lo_u32_b32 v0, exec_lo, 0
	v_mbcnt_hi_u32_b32 v0, exec_hi, v0
	v_cmp_eq_u32_e32 vcc, 0, v0
	s_and_b64 exec, exec, vcc
	s_cbranch_execz .LBB31_37
; %bb.36:
	s_add_i32 s0, s6, s12
	v_mov_b32_e32 v0, 0
	v_mov_b32_e32 v1, s0
	global_atomic_smin v0, v1, s[20:21]
.LBB31_37:
	s_endpgm
	.section	.rodata,"a",@progbits
	.p2align	6, 0x0
	.amdhsa_kernel _ZN9rocsparseL24bsrsm_lower_large_kernelILj1024ELj16ELb0EdEEviiPKiS2_PKT2_iPS3_iPiS2_S7_21rocsparse_index_base_20rocsparse_diag_type_20rocsparse_direction_
		.amdhsa_group_segment_fixed_size 0
		.amdhsa_private_segment_fixed_size 0
		.amdhsa_kernarg_size 92
		.amdhsa_user_sgpr_count 6
		.amdhsa_user_sgpr_private_segment_buffer 1
		.amdhsa_user_sgpr_dispatch_ptr 0
		.amdhsa_user_sgpr_queue_ptr 0
		.amdhsa_user_sgpr_kernarg_segment_ptr 1
		.amdhsa_user_sgpr_dispatch_id 0
		.amdhsa_user_sgpr_flat_scratch_init 0
		.amdhsa_user_sgpr_private_segment_size 0
		.amdhsa_uses_dynamic_stack 0
		.amdhsa_system_sgpr_private_segment_wavefront_offset 0
		.amdhsa_system_sgpr_workgroup_id_x 1
		.amdhsa_system_sgpr_workgroup_id_y 0
		.amdhsa_system_sgpr_workgroup_id_z 0
		.amdhsa_system_sgpr_workgroup_info 0
		.amdhsa_system_vgpr_workitem_id 0
		.amdhsa_next_free_vgpr 20
		.amdhsa_next_free_sgpr 42
		.amdhsa_reserve_vcc 1
		.amdhsa_reserve_flat_scratch 0
		.amdhsa_float_round_mode_32 0
		.amdhsa_float_round_mode_16_64 0
		.amdhsa_float_denorm_mode_32 3
		.amdhsa_float_denorm_mode_16_64 3
		.amdhsa_dx10_clamp 1
		.amdhsa_ieee_mode 1
		.amdhsa_fp16_overflow 0
		.amdhsa_exception_fp_ieee_invalid_op 0
		.amdhsa_exception_fp_denorm_src 0
		.amdhsa_exception_fp_ieee_div_zero 0
		.amdhsa_exception_fp_ieee_overflow 0
		.amdhsa_exception_fp_ieee_underflow 0
		.amdhsa_exception_fp_ieee_inexact 0
		.amdhsa_exception_int_div_zero 0
	.end_amdhsa_kernel
	.section	.text._ZN9rocsparseL24bsrsm_lower_large_kernelILj1024ELj16ELb0EdEEviiPKiS2_PKT2_iPS3_iPiS2_S7_21rocsparse_index_base_20rocsparse_diag_type_20rocsparse_direction_,"axG",@progbits,_ZN9rocsparseL24bsrsm_lower_large_kernelILj1024ELj16ELb0EdEEviiPKiS2_PKT2_iPS3_iPiS2_S7_21rocsparse_index_base_20rocsparse_diag_type_20rocsparse_direction_,comdat
.Lfunc_end31:
	.size	_ZN9rocsparseL24bsrsm_lower_large_kernelILj1024ELj16ELb0EdEEviiPKiS2_PKT2_iPS3_iPiS2_S7_21rocsparse_index_base_20rocsparse_diag_type_20rocsparse_direction_, .Lfunc_end31-_ZN9rocsparseL24bsrsm_lower_large_kernelILj1024ELj16ELb0EdEEviiPKiS2_PKT2_iPS3_iPiS2_S7_21rocsparse_index_base_20rocsparse_diag_type_20rocsparse_direction_
                                        ; -- End function
	.set _ZN9rocsparseL24bsrsm_lower_large_kernelILj1024ELj16ELb0EdEEviiPKiS2_PKT2_iPS3_iPiS2_S7_21rocsparse_index_base_20rocsparse_diag_type_20rocsparse_direction_.num_vgpr, 20
	.set _ZN9rocsparseL24bsrsm_lower_large_kernelILj1024ELj16ELb0EdEEviiPKiS2_PKT2_iPS3_iPiS2_S7_21rocsparse_index_base_20rocsparse_diag_type_20rocsparse_direction_.num_agpr, 0
	.set _ZN9rocsparseL24bsrsm_lower_large_kernelILj1024ELj16ELb0EdEEviiPKiS2_PKT2_iPS3_iPiS2_S7_21rocsparse_index_base_20rocsparse_diag_type_20rocsparse_direction_.numbered_sgpr, 42
	.set _ZN9rocsparseL24bsrsm_lower_large_kernelILj1024ELj16ELb0EdEEviiPKiS2_PKT2_iPS3_iPiS2_S7_21rocsparse_index_base_20rocsparse_diag_type_20rocsparse_direction_.num_named_barrier, 0
	.set _ZN9rocsparseL24bsrsm_lower_large_kernelILj1024ELj16ELb0EdEEviiPKiS2_PKT2_iPS3_iPiS2_S7_21rocsparse_index_base_20rocsparse_diag_type_20rocsparse_direction_.private_seg_size, 0
	.set _ZN9rocsparseL24bsrsm_lower_large_kernelILj1024ELj16ELb0EdEEviiPKiS2_PKT2_iPS3_iPiS2_S7_21rocsparse_index_base_20rocsparse_diag_type_20rocsparse_direction_.uses_vcc, 1
	.set _ZN9rocsparseL24bsrsm_lower_large_kernelILj1024ELj16ELb0EdEEviiPKiS2_PKT2_iPS3_iPiS2_S7_21rocsparse_index_base_20rocsparse_diag_type_20rocsparse_direction_.uses_flat_scratch, 0
	.set _ZN9rocsparseL24bsrsm_lower_large_kernelILj1024ELj16ELb0EdEEviiPKiS2_PKT2_iPS3_iPiS2_S7_21rocsparse_index_base_20rocsparse_diag_type_20rocsparse_direction_.has_dyn_sized_stack, 0
	.set _ZN9rocsparseL24bsrsm_lower_large_kernelILj1024ELj16ELb0EdEEviiPKiS2_PKT2_iPS3_iPiS2_S7_21rocsparse_index_base_20rocsparse_diag_type_20rocsparse_direction_.has_recursion, 0
	.set _ZN9rocsparseL24bsrsm_lower_large_kernelILj1024ELj16ELb0EdEEviiPKiS2_PKT2_iPS3_iPiS2_S7_21rocsparse_index_base_20rocsparse_diag_type_20rocsparse_direction_.has_indirect_call, 0
	.section	.AMDGPU.csdata,"",@progbits
; Kernel info:
; codeLenInByte = 1508
; TotalNumSgprs: 46
; NumVgprs: 20
; ScratchSize: 0
; MemoryBound: 0
; FloatMode: 240
; IeeeMode: 1
; LDSByteSize: 0 bytes/workgroup (compile time only)
; SGPRBlocks: 5
; VGPRBlocks: 4
; NumSGPRsForWavesPerEU: 46
; NumVGPRsForWavesPerEU: 20
; Occupancy: 10
; WaveLimiterHint : 1
; COMPUTE_PGM_RSRC2:SCRATCH_EN: 0
; COMPUTE_PGM_RSRC2:USER_SGPR: 6
; COMPUTE_PGM_RSRC2:TRAP_HANDLER: 0
; COMPUTE_PGM_RSRC2:TGID_X_EN: 1
; COMPUTE_PGM_RSRC2:TGID_Y_EN: 0
; COMPUTE_PGM_RSRC2:TGID_Z_EN: 0
; COMPUTE_PGM_RSRC2:TIDIG_COMP_CNT: 0
	.section	.text._ZN9rocsparseL16bsrsm_copy_scaleILj1024E21rocsparse_complex_numIfEEEviiNS_24const_host_device_scalarIT0_EEPKS4_lPS4_lb,"axG",@progbits,_ZN9rocsparseL16bsrsm_copy_scaleILj1024E21rocsparse_complex_numIfEEEviiNS_24const_host_device_scalarIT0_EEPKS4_lPS4_lb,comdat
	.globl	_ZN9rocsparseL16bsrsm_copy_scaleILj1024E21rocsparse_complex_numIfEEEviiNS_24const_host_device_scalarIT0_EEPKS4_lPS4_lb ; -- Begin function _ZN9rocsparseL16bsrsm_copy_scaleILj1024E21rocsparse_complex_numIfEEEviiNS_24const_host_device_scalarIT0_EEPKS4_lPS4_lb
	.p2align	8
	.type	_ZN9rocsparseL16bsrsm_copy_scaleILj1024E21rocsparse_complex_numIfEEEviiNS_24const_host_device_scalarIT0_EEPKS4_lPS4_lb,@function
_ZN9rocsparseL16bsrsm_copy_scaleILj1024E21rocsparse_complex_numIfEEEviiNS_24const_host_device_scalarIT0_EEPKS4_lPS4_lb: ; @_ZN9rocsparseL16bsrsm_copy_scaleILj1024E21rocsparse_complex_numIfEEEviiNS_24const_host_device_scalarIT0_EEPKS4_lPS4_lb
; %bb.0:
	s_load_dword s0, s[4:5], 0x30
	s_load_dwordx8 s[8:15], s[4:5], 0x8
	s_waitcnt lgkmcnt(0)
	s_bitcmp1_b32 s0, 0
	s_cselect_b64 s[2:3], -1, 0
	s_xor_b64 s[0:1], s[2:3], -1
	s_and_b64 vcc, exec, s[2:3]
	s_mov_b32 s2, s8
	s_cbranch_vccnz .LBB32_2
; %bb.1:
	s_load_dword s2, s[8:9], 0x0
.LBB32_2:
	s_andn2_b64 vcc, exec, s[0:1]
	s_cbranch_vccnz .LBB32_4
; %bb.3:
	s_load_dword s9, s[8:9], 0x4
.LBB32_4:
	s_nop 0
	s_load_dword s3, s[4:5], 0x44
	s_load_dwordx2 s[0:1], s[4:5], 0x0
	s_waitcnt lgkmcnt(0)
	s_and_b32 s3, s3, 0xffff
	s_mul_i32 s6, s6, s3
	s_cmp_gt_i32 s1, 0
	v_add_u32_e32 v0, s6, v0
	v_cmp_gt_i32_e32 vcc, s0, v0
	s_cselect_b64 s[6:7], -1, 0
	s_and_b64 s[6:7], s[6:7], vcc
	s_and_saveexec_b64 s[16:17], s[6:7]
	s_cbranch_execz .LBB32_7
; %bb.5:
	v_ashrrev_i32_e32 v3, 31, v0
	v_mul_lo_u32 v4, s13, v0
	v_mul_lo_u32 v5, s12, v3
	v_mad_u64_u32 v[1:2], s[6:7], s12, v0, 0
	s_load_dwordx2 s[4:5], s[4:5], 0x28
	v_add3_u32 v2, v2, v5, v4
	v_lshlrev_b64 v[1:2], 3, v[1:2]
	v_mov_b32_e32 v4, s11
	v_add_co_u32_e32 v1, vcc, s10, v1
	v_addc_co_u32_e32 v4, vcc, v4, v2, vcc
	s_waitcnt lgkmcnt(0)
	v_mul_lo_u32 v5, s5, v0
	v_mul_lo_u32 v6, s4, v3
	v_mad_u64_u32 v[2:3], s[4:5], s4, v0, 0
	v_add_co_u32_e32 v0, vcc, 4, v1
	v_add3_u32 v3, v3, v6, v5
	v_lshlrev_b64 v[2:3], 3, v[2:3]
	v_addc_co_u32_e32 v1, vcc, 0, v4, vcc
	v_mov_b32_e32 v4, s15
	v_add_co_u32_e32 v2, vcc, s14, v2
	v_addc_co_u32_e32 v3, vcc, v4, v3, vcc
	v_add_co_u32_e32 v2, vcc, 4, v2
	v_addc_co_u32_e32 v3, vcc, 0, v3, vcc
.LBB32_6:                               ; =>This Inner Loop Header: Depth=1
	global_load_dwordx2 v[4:5], v[0:1], off offset:-4
	v_add_co_u32_e32 v0, vcc, 8, v0
	v_addc_co_u32_e32 v1, vcc, 0, v1, vcc
	s_add_i32 s1, s1, -1
	s_cmp_lg_u32 s1, 0
	s_waitcnt vmcnt(0)
	v_mul_f32_e64 v6, v5, -s9
	v_mul_f32_e32 v7, s2, v5
	v_fmac_f32_e32 v6, s2, v4
	v_fmac_f32_e32 v7, s9, v4
	global_store_dwordx2 v[2:3], v[6:7], off offset:-4
	v_add_co_u32_e32 v2, vcc, 8, v2
	v_addc_co_u32_e32 v3, vcc, 0, v3, vcc
	s_cbranch_scc1 .LBB32_6
.LBB32_7:
	s_endpgm
	.section	.rodata,"a",@progbits
	.p2align	6, 0x0
	.amdhsa_kernel _ZN9rocsparseL16bsrsm_copy_scaleILj1024E21rocsparse_complex_numIfEEEviiNS_24const_host_device_scalarIT0_EEPKS4_lPS4_lb
		.amdhsa_group_segment_fixed_size 0
		.amdhsa_private_segment_fixed_size 0
		.amdhsa_kernarg_size 312
		.amdhsa_user_sgpr_count 6
		.amdhsa_user_sgpr_private_segment_buffer 1
		.amdhsa_user_sgpr_dispatch_ptr 0
		.amdhsa_user_sgpr_queue_ptr 0
		.amdhsa_user_sgpr_kernarg_segment_ptr 1
		.amdhsa_user_sgpr_dispatch_id 0
		.amdhsa_user_sgpr_flat_scratch_init 0
		.amdhsa_user_sgpr_private_segment_size 0
		.amdhsa_uses_dynamic_stack 0
		.amdhsa_system_sgpr_private_segment_wavefront_offset 0
		.amdhsa_system_sgpr_workgroup_id_x 1
		.amdhsa_system_sgpr_workgroup_id_y 0
		.amdhsa_system_sgpr_workgroup_id_z 0
		.amdhsa_system_sgpr_workgroup_info 0
		.amdhsa_system_vgpr_workitem_id 0
		.amdhsa_next_free_vgpr 8
		.amdhsa_next_free_sgpr 18
		.amdhsa_reserve_vcc 1
		.amdhsa_reserve_flat_scratch 0
		.amdhsa_float_round_mode_32 0
		.amdhsa_float_round_mode_16_64 0
		.amdhsa_float_denorm_mode_32 3
		.amdhsa_float_denorm_mode_16_64 3
		.amdhsa_dx10_clamp 1
		.amdhsa_ieee_mode 1
		.amdhsa_fp16_overflow 0
		.amdhsa_exception_fp_ieee_invalid_op 0
		.amdhsa_exception_fp_denorm_src 0
		.amdhsa_exception_fp_ieee_div_zero 0
		.amdhsa_exception_fp_ieee_overflow 0
		.amdhsa_exception_fp_ieee_underflow 0
		.amdhsa_exception_fp_ieee_inexact 0
		.amdhsa_exception_int_div_zero 0
	.end_amdhsa_kernel
	.section	.text._ZN9rocsparseL16bsrsm_copy_scaleILj1024E21rocsparse_complex_numIfEEEviiNS_24const_host_device_scalarIT0_EEPKS4_lPS4_lb,"axG",@progbits,_ZN9rocsparseL16bsrsm_copy_scaleILj1024E21rocsparse_complex_numIfEEEviiNS_24const_host_device_scalarIT0_EEPKS4_lPS4_lb,comdat
.Lfunc_end32:
	.size	_ZN9rocsparseL16bsrsm_copy_scaleILj1024E21rocsparse_complex_numIfEEEviiNS_24const_host_device_scalarIT0_EEPKS4_lPS4_lb, .Lfunc_end32-_ZN9rocsparseL16bsrsm_copy_scaleILj1024E21rocsparse_complex_numIfEEEviiNS_24const_host_device_scalarIT0_EEPKS4_lPS4_lb
                                        ; -- End function
	.set _ZN9rocsparseL16bsrsm_copy_scaleILj1024E21rocsparse_complex_numIfEEEviiNS_24const_host_device_scalarIT0_EEPKS4_lPS4_lb.num_vgpr, 8
	.set _ZN9rocsparseL16bsrsm_copy_scaleILj1024E21rocsparse_complex_numIfEEEviiNS_24const_host_device_scalarIT0_EEPKS4_lPS4_lb.num_agpr, 0
	.set _ZN9rocsparseL16bsrsm_copy_scaleILj1024E21rocsparse_complex_numIfEEEviiNS_24const_host_device_scalarIT0_EEPKS4_lPS4_lb.numbered_sgpr, 18
	.set _ZN9rocsparseL16bsrsm_copy_scaleILj1024E21rocsparse_complex_numIfEEEviiNS_24const_host_device_scalarIT0_EEPKS4_lPS4_lb.num_named_barrier, 0
	.set _ZN9rocsparseL16bsrsm_copy_scaleILj1024E21rocsparse_complex_numIfEEEviiNS_24const_host_device_scalarIT0_EEPKS4_lPS4_lb.private_seg_size, 0
	.set _ZN9rocsparseL16bsrsm_copy_scaleILj1024E21rocsparse_complex_numIfEEEviiNS_24const_host_device_scalarIT0_EEPKS4_lPS4_lb.uses_vcc, 1
	.set _ZN9rocsparseL16bsrsm_copy_scaleILj1024E21rocsparse_complex_numIfEEEviiNS_24const_host_device_scalarIT0_EEPKS4_lPS4_lb.uses_flat_scratch, 0
	.set _ZN9rocsparseL16bsrsm_copy_scaleILj1024E21rocsparse_complex_numIfEEEviiNS_24const_host_device_scalarIT0_EEPKS4_lPS4_lb.has_dyn_sized_stack, 0
	.set _ZN9rocsparseL16bsrsm_copy_scaleILj1024E21rocsparse_complex_numIfEEEviiNS_24const_host_device_scalarIT0_EEPKS4_lPS4_lb.has_recursion, 0
	.set _ZN9rocsparseL16bsrsm_copy_scaleILj1024E21rocsparse_complex_numIfEEEviiNS_24const_host_device_scalarIT0_EEPKS4_lPS4_lb.has_indirect_call, 0
	.section	.AMDGPU.csdata,"",@progbits
; Kernel info:
; codeLenInByte = 340
; TotalNumSgprs: 22
; NumVgprs: 8
; ScratchSize: 0
; MemoryBound: 0
; FloatMode: 240
; IeeeMode: 1
; LDSByteSize: 0 bytes/workgroup (compile time only)
; SGPRBlocks: 2
; VGPRBlocks: 1
; NumSGPRsForWavesPerEU: 22
; NumVGPRsForWavesPerEU: 8
; Occupancy: 10
; WaveLimiterHint : 0
; COMPUTE_PGM_RSRC2:SCRATCH_EN: 0
; COMPUTE_PGM_RSRC2:USER_SGPR: 6
; COMPUTE_PGM_RSRC2:TRAP_HANDLER: 0
; COMPUTE_PGM_RSRC2:TGID_X_EN: 1
; COMPUTE_PGM_RSRC2:TGID_Y_EN: 0
; COMPUTE_PGM_RSRC2:TGID_Z_EN: 0
; COMPUTE_PGM_RSRC2:TIDIG_COMP_CNT: 0
	.section	.text._ZN9rocsparseL10bsr_gatherILj4ELj64ELj2Ei21rocsparse_complex_numIfEEEv20rocsparse_direction_T2_PKS4_PKT3_PS7_S4_,"axG",@progbits,_ZN9rocsparseL10bsr_gatherILj4ELj64ELj2Ei21rocsparse_complex_numIfEEEv20rocsparse_direction_T2_PKS4_PKT3_PS7_S4_,comdat
	.globl	_ZN9rocsparseL10bsr_gatherILj4ELj64ELj2Ei21rocsparse_complex_numIfEEEv20rocsparse_direction_T2_PKS4_PKT3_PS7_S4_ ; -- Begin function _ZN9rocsparseL10bsr_gatherILj4ELj64ELj2Ei21rocsparse_complex_numIfEEEv20rocsparse_direction_T2_PKS4_PKT3_PS7_S4_
	.p2align	8
	.type	_ZN9rocsparseL10bsr_gatherILj4ELj64ELj2Ei21rocsparse_complex_numIfEEEv20rocsparse_direction_T2_PKS4_PKT3_PS7_S4_,@function
_ZN9rocsparseL10bsr_gatherILj4ELj64ELj2Ei21rocsparse_complex_numIfEEEv20rocsparse_direction_T2_PKS4_PKT3_PS7_S4_: ; @_ZN9rocsparseL10bsr_gatherILj4ELj64ELj2Ei21rocsparse_complex_numIfEEEv20rocsparse_direction_T2_PKS4_PKT3_PS7_S4_
; %bb.0:
	s_load_dwordx2 s[8:9], s[4:5], 0x0
	v_lshl_add_u32 v2, s6, 6, v1
	s_waitcnt lgkmcnt(0)
	v_cmp_gt_i32_e32 vcc, s9, v2
	s_and_saveexec_b64 s[0:1], vcc
	s_cbranch_execz .LBB33_15
; %bb.1:
	s_load_dword s16, s[4:5], 0x20
	v_and_b32_e32 v1, 1, v0
	s_waitcnt lgkmcnt(0)
	v_cmp_gt_i32_e32 vcc, s16, v1
	s_and_b64 exec, exec, vcc
	s_cbranch_execz .LBB33_15
; %bb.2:
	s_load_dwordx4 s[0:3], s[4:5], 0x8
	s_load_dwordx2 s[6:7], s[4:5], 0x18
	v_ashrrev_i32_e32 v3, 31, v2
	v_lshlrev_b64 v[3:4], 2, v[2:3]
	v_mul_lo_u32 v6, s16, v2
	s_waitcnt lgkmcnt(0)
	v_mov_b32_e32 v5, s1
	v_add_co_u32_e32 v3, vcc, s0, v3
	v_addc_co_u32_e32 v4, vcc, v5, v4, vcc
	global_load_dword v3, v[3:4], off
	v_add_u32_e32 v2, v6, v1
	v_mul_lo_u32 v8, s16, v2
	v_lshrrev_b32_e32 v0, 1, v0
	s_cmp_lg_u32 s8, 0
	v_cmp_gt_u32_e64 s[0:1], s16, v0
	s_cselect_b64 s[4:5], -1, 0
	s_lshl_b32 s17, s16, 1
	s_mov_b64 s[8:9], 0
	s_waitcnt vmcnt(0)
	v_mul_lo_u32 v7, v3, s16
	v_add_u32_e32 v2, v7, v1
	v_mul_lo_u32 v9, s16, v2
	s_branch .LBB33_4
.LBB33_3:                               ;   in Loop: Header=BB33_4 Depth=1
	s_or_b64 exec, exec, s[10:11]
	v_add_u32_e32 v1, 2, v1
	v_cmp_le_i32_e32 vcc, s16, v1
	v_add_u32_e32 v8, s17, v8
	s_or_b64 s[8:9], vcc, s[8:9]
	v_add_u32_e32 v9, s17, v9
	s_andn2_b64 exec, exec, s[8:9]
	s_cbranch_execz .LBB33_15
.LBB33_4:                               ; =>This Loop Header: Depth=1
                                        ;     Child Loop BB33_7 Depth 2
	s_and_saveexec_b64 s[10:11], s[0:1]
	s_cbranch_execz .LBB33_3
; %bb.5:                                ;   in Loop: Header=BB33_4 Depth=1
	s_mov_b64 s[12:13], 0
	v_mov_b32_e32 v10, v0
	s_branch .LBB33_7
.LBB33_6:                               ;   in Loop: Header=BB33_7 Depth=2
	v_ashrrev_i32_e32 v3, 31, v2
	v_lshlrev_b64 v[2:3], 3, v[2:3]
	v_mov_b32_e32 v5, s3
	v_add_co_u32_e32 v2, vcc, s2, v2
	v_addc_co_u32_e32 v3, vcc, v5, v3, vcc
	global_load_dwordx2 v[2:3], v[2:3], off
	v_ashrrev_i32_e32 v5, 31, v4
	v_lshlrev_b64 v[4:5], 3, v[4:5]
	v_mov_b32_e32 v11, s7
	v_add_co_u32_e32 v4, vcc, s6, v4
	v_addc_co_u32_e32 v5, vcc, v11, v5, vcc
	v_add_u32_e32 v10, 2, v10
	v_cmp_le_i32_e32 vcc, s16, v10
	s_or_b64 s[12:13], vcc, s[12:13]
	s_waitcnt vmcnt(0)
	global_store_dwordx2 v[4:5], v[2:3], off
	s_andn2_b64 exec, exec, s[12:13]
	s_cbranch_execz .LBB33_3
.LBB33_7:                               ;   Parent Loop BB33_4 Depth=1
                                        ; =>  This Inner Loop Header: Depth=2
	s_and_b64 vcc, exec, s[4:5]
	s_cbranch_vccz .LBB33_12
; %bb.8:                                ;   in Loop: Header=BB33_7 Depth=2
	v_add_u32_e32 v2, v9, v10
	s_cbranch_execnz .LBB33_10
.LBB33_9:                               ;   in Loop: Header=BB33_7 Depth=2
	v_add_u32_e32 v2, v10, v7
	v_mad_u64_u32 v[2:3], s[14:15], v2, s16, v[1:2]
.LBB33_10:                              ;   in Loop: Header=BB33_7 Depth=2
	s_and_b64 vcc, exec, s[4:5]
	s_cbranch_vccz .LBB33_13
; %bb.11:                               ;   in Loop: Header=BB33_7 Depth=2
	v_add_u32_e32 v3, v10, v6
	v_mad_u64_u32 v[4:5], s[14:15], v3, s16, v[1:2]
	s_cbranch_execnz .LBB33_6
	s_branch .LBB33_14
.LBB33_12:                              ;   in Loop: Header=BB33_7 Depth=2
                                        ; implicit-def: $vgpr2
	s_branch .LBB33_9
.LBB33_13:                              ;   in Loop: Header=BB33_7 Depth=2
                                        ; implicit-def: $vgpr4
.LBB33_14:                              ;   in Loop: Header=BB33_7 Depth=2
	v_add_u32_e32 v4, v8, v10
	s_branch .LBB33_6
.LBB33_15:
	s_endpgm
	.section	.rodata,"a",@progbits
	.p2align	6, 0x0
	.amdhsa_kernel _ZN9rocsparseL10bsr_gatherILj4ELj64ELj2Ei21rocsparse_complex_numIfEEEv20rocsparse_direction_T2_PKS4_PKT3_PS7_S4_
		.amdhsa_group_segment_fixed_size 0
		.amdhsa_private_segment_fixed_size 0
		.amdhsa_kernarg_size 36
		.amdhsa_user_sgpr_count 6
		.amdhsa_user_sgpr_private_segment_buffer 1
		.amdhsa_user_sgpr_dispatch_ptr 0
		.amdhsa_user_sgpr_queue_ptr 0
		.amdhsa_user_sgpr_kernarg_segment_ptr 1
		.amdhsa_user_sgpr_dispatch_id 0
		.amdhsa_user_sgpr_flat_scratch_init 0
		.amdhsa_user_sgpr_private_segment_size 0
		.amdhsa_uses_dynamic_stack 0
		.amdhsa_system_sgpr_private_segment_wavefront_offset 0
		.amdhsa_system_sgpr_workgroup_id_x 1
		.amdhsa_system_sgpr_workgroup_id_y 0
		.amdhsa_system_sgpr_workgroup_id_z 0
		.amdhsa_system_sgpr_workgroup_info 0
		.amdhsa_system_vgpr_workitem_id 1
		.amdhsa_next_free_vgpr 12
		.amdhsa_next_free_sgpr 18
		.amdhsa_reserve_vcc 1
		.amdhsa_reserve_flat_scratch 0
		.amdhsa_float_round_mode_32 0
		.amdhsa_float_round_mode_16_64 0
		.amdhsa_float_denorm_mode_32 3
		.amdhsa_float_denorm_mode_16_64 3
		.amdhsa_dx10_clamp 1
		.amdhsa_ieee_mode 1
		.amdhsa_fp16_overflow 0
		.amdhsa_exception_fp_ieee_invalid_op 0
		.amdhsa_exception_fp_denorm_src 0
		.amdhsa_exception_fp_ieee_div_zero 0
		.amdhsa_exception_fp_ieee_overflow 0
		.amdhsa_exception_fp_ieee_underflow 0
		.amdhsa_exception_fp_ieee_inexact 0
		.amdhsa_exception_int_div_zero 0
	.end_amdhsa_kernel
	.section	.text._ZN9rocsparseL10bsr_gatherILj4ELj64ELj2Ei21rocsparse_complex_numIfEEEv20rocsparse_direction_T2_PKS4_PKT3_PS7_S4_,"axG",@progbits,_ZN9rocsparseL10bsr_gatherILj4ELj64ELj2Ei21rocsparse_complex_numIfEEEv20rocsparse_direction_T2_PKS4_PKT3_PS7_S4_,comdat
.Lfunc_end33:
	.size	_ZN9rocsparseL10bsr_gatherILj4ELj64ELj2Ei21rocsparse_complex_numIfEEEv20rocsparse_direction_T2_PKS4_PKT3_PS7_S4_, .Lfunc_end33-_ZN9rocsparseL10bsr_gatherILj4ELj64ELj2Ei21rocsparse_complex_numIfEEEv20rocsparse_direction_T2_PKS4_PKT3_PS7_S4_
                                        ; -- End function
	.set _ZN9rocsparseL10bsr_gatherILj4ELj64ELj2Ei21rocsparse_complex_numIfEEEv20rocsparse_direction_T2_PKS4_PKT3_PS7_S4_.num_vgpr, 12
	.set _ZN9rocsparseL10bsr_gatherILj4ELj64ELj2Ei21rocsparse_complex_numIfEEEv20rocsparse_direction_T2_PKS4_PKT3_PS7_S4_.num_agpr, 0
	.set _ZN9rocsparseL10bsr_gatherILj4ELj64ELj2Ei21rocsparse_complex_numIfEEEv20rocsparse_direction_T2_PKS4_PKT3_PS7_S4_.numbered_sgpr, 18
	.set _ZN9rocsparseL10bsr_gatherILj4ELj64ELj2Ei21rocsparse_complex_numIfEEEv20rocsparse_direction_T2_PKS4_PKT3_PS7_S4_.num_named_barrier, 0
	.set _ZN9rocsparseL10bsr_gatherILj4ELj64ELj2Ei21rocsparse_complex_numIfEEEv20rocsparse_direction_T2_PKS4_PKT3_PS7_S4_.private_seg_size, 0
	.set _ZN9rocsparseL10bsr_gatherILj4ELj64ELj2Ei21rocsparse_complex_numIfEEEv20rocsparse_direction_T2_PKS4_PKT3_PS7_S4_.uses_vcc, 1
	.set _ZN9rocsparseL10bsr_gatherILj4ELj64ELj2Ei21rocsparse_complex_numIfEEEv20rocsparse_direction_T2_PKS4_PKT3_PS7_S4_.uses_flat_scratch, 0
	.set _ZN9rocsparseL10bsr_gatherILj4ELj64ELj2Ei21rocsparse_complex_numIfEEEv20rocsparse_direction_T2_PKS4_PKT3_PS7_S4_.has_dyn_sized_stack, 0
	.set _ZN9rocsparseL10bsr_gatherILj4ELj64ELj2Ei21rocsparse_complex_numIfEEEv20rocsparse_direction_T2_PKS4_PKT3_PS7_S4_.has_recursion, 0
	.set _ZN9rocsparseL10bsr_gatherILj4ELj64ELj2Ei21rocsparse_complex_numIfEEEv20rocsparse_direction_T2_PKS4_PKT3_PS7_S4_.has_indirect_call, 0
	.section	.AMDGPU.csdata,"",@progbits
; Kernel info:
; codeLenInByte = 400
; TotalNumSgprs: 22
; NumVgprs: 12
; ScratchSize: 0
; MemoryBound: 0
; FloatMode: 240
; IeeeMode: 1
; LDSByteSize: 0 bytes/workgroup (compile time only)
; SGPRBlocks: 2
; VGPRBlocks: 2
; NumSGPRsForWavesPerEU: 22
; NumVGPRsForWavesPerEU: 12
; Occupancy: 10
; WaveLimiterHint : 0
; COMPUTE_PGM_RSRC2:SCRATCH_EN: 0
; COMPUTE_PGM_RSRC2:USER_SGPR: 6
; COMPUTE_PGM_RSRC2:TRAP_HANDLER: 0
; COMPUTE_PGM_RSRC2:TGID_X_EN: 1
; COMPUTE_PGM_RSRC2:TGID_Y_EN: 0
; COMPUTE_PGM_RSRC2:TGID_Z_EN: 0
; COMPUTE_PGM_RSRC2:TIDIG_COMP_CNT: 1
	.section	.text._ZN9rocsparseL10bsr_gatherILj16ELj16ELj4Ei21rocsparse_complex_numIfEEEv20rocsparse_direction_T2_PKS4_PKT3_PS7_S4_,"axG",@progbits,_ZN9rocsparseL10bsr_gatherILj16ELj16ELj4Ei21rocsparse_complex_numIfEEEv20rocsparse_direction_T2_PKS4_PKT3_PS7_S4_,comdat
	.globl	_ZN9rocsparseL10bsr_gatherILj16ELj16ELj4Ei21rocsparse_complex_numIfEEEv20rocsparse_direction_T2_PKS4_PKT3_PS7_S4_ ; -- Begin function _ZN9rocsparseL10bsr_gatherILj16ELj16ELj4Ei21rocsparse_complex_numIfEEEv20rocsparse_direction_T2_PKS4_PKT3_PS7_S4_
	.p2align	8
	.type	_ZN9rocsparseL10bsr_gatherILj16ELj16ELj4Ei21rocsparse_complex_numIfEEEv20rocsparse_direction_T2_PKS4_PKT3_PS7_S4_,@function
_ZN9rocsparseL10bsr_gatherILj16ELj16ELj4Ei21rocsparse_complex_numIfEEEv20rocsparse_direction_T2_PKS4_PKT3_PS7_S4_: ; @_ZN9rocsparseL10bsr_gatherILj16ELj16ELj4Ei21rocsparse_complex_numIfEEEv20rocsparse_direction_T2_PKS4_PKT3_PS7_S4_
; %bb.0:
	s_load_dwordx2 s[8:9], s[4:5], 0x0
	v_lshl_add_u32 v2, s6, 4, v1
	s_waitcnt lgkmcnt(0)
	v_cmp_gt_i32_e32 vcc, s9, v2
	s_and_saveexec_b64 s[0:1], vcc
	s_cbranch_execz .LBB34_15
; %bb.1:
	s_load_dword s16, s[4:5], 0x20
	v_and_b32_e32 v1, 3, v0
	s_waitcnt lgkmcnt(0)
	v_cmp_gt_i32_e32 vcc, s16, v1
	s_and_b64 exec, exec, vcc
	s_cbranch_execz .LBB34_15
; %bb.2:
	s_load_dwordx4 s[0:3], s[4:5], 0x8
	s_load_dwordx2 s[6:7], s[4:5], 0x18
	v_ashrrev_i32_e32 v3, 31, v2
	v_lshlrev_b64 v[3:4], 2, v[2:3]
	v_mul_lo_u32 v6, s16, v2
	s_waitcnt lgkmcnt(0)
	v_mov_b32_e32 v5, s1
	v_add_co_u32_e32 v3, vcc, s0, v3
	v_addc_co_u32_e32 v4, vcc, v5, v4, vcc
	global_load_dword v3, v[3:4], off
	v_add_u32_e32 v2, v6, v1
	v_mul_lo_u32 v8, s16, v2
	v_lshrrev_b32_e32 v0, 2, v0
	s_cmp_lg_u32 s8, 0
	v_cmp_gt_u32_e64 s[0:1], s16, v0
	s_cselect_b64 s[4:5], -1, 0
	s_lshl_b32 s17, s16, 2
	s_mov_b64 s[8:9], 0
	s_waitcnt vmcnt(0)
	v_mul_lo_u32 v7, v3, s16
	v_add_u32_e32 v2, v7, v1
	v_mul_lo_u32 v9, s16, v2
	s_branch .LBB34_4
.LBB34_3:                               ;   in Loop: Header=BB34_4 Depth=1
	s_or_b64 exec, exec, s[10:11]
	v_add_u32_e32 v1, 4, v1
	v_cmp_le_i32_e32 vcc, s16, v1
	v_add_u32_e32 v8, s17, v8
	s_or_b64 s[8:9], vcc, s[8:9]
	v_add_u32_e32 v9, s17, v9
	s_andn2_b64 exec, exec, s[8:9]
	s_cbranch_execz .LBB34_15
.LBB34_4:                               ; =>This Loop Header: Depth=1
                                        ;     Child Loop BB34_7 Depth 2
	s_and_saveexec_b64 s[10:11], s[0:1]
	s_cbranch_execz .LBB34_3
; %bb.5:                                ;   in Loop: Header=BB34_4 Depth=1
	s_mov_b64 s[12:13], 0
	v_mov_b32_e32 v10, v0
	s_branch .LBB34_7
.LBB34_6:                               ;   in Loop: Header=BB34_7 Depth=2
	v_ashrrev_i32_e32 v3, 31, v2
	v_lshlrev_b64 v[2:3], 3, v[2:3]
	v_mov_b32_e32 v5, s3
	v_add_co_u32_e32 v2, vcc, s2, v2
	v_addc_co_u32_e32 v3, vcc, v5, v3, vcc
	global_load_dwordx2 v[2:3], v[2:3], off
	v_ashrrev_i32_e32 v5, 31, v4
	v_lshlrev_b64 v[4:5], 3, v[4:5]
	v_mov_b32_e32 v11, s7
	v_add_co_u32_e32 v4, vcc, s6, v4
	v_addc_co_u32_e32 v5, vcc, v11, v5, vcc
	v_add_u32_e32 v10, 4, v10
	v_cmp_le_i32_e32 vcc, s16, v10
	s_or_b64 s[12:13], vcc, s[12:13]
	s_waitcnt vmcnt(0)
	global_store_dwordx2 v[4:5], v[2:3], off
	s_andn2_b64 exec, exec, s[12:13]
	s_cbranch_execz .LBB34_3
.LBB34_7:                               ;   Parent Loop BB34_4 Depth=1
                                        ; =>  This Inner Loop Header: Depth=2
	s_and_b64 vcc, exec, s[4:5]
	s_cbranch_vccz .LBB34_12
; %bb.8:                                ;   in Loop: Header=BB34_7 Depth=2
	v_add_u32_e32 v2, v9, v10
	s_cbranch_execnz .LBB34_10
.LBB34_9:                               ;   in Loop: Header=BB34_7 Depth=2
	v_add_u32_e32 v2, v10, v7
	v_mad_u64_u32 v[2:3], s[14:15], v2, s16, v[1:2]
.LBB34_10:                              ;   in Loop: Header=BB34_7 Depth=2
	s_and_b64 vcc, exec, s[4:5]
	s_cbranch_vccz .LBB34_13
; %bb.11:                               ;   in Loop: Header=BB34_7 Depth=2
	v_add_u32_e32 v3, v10, v6
	v_mad_u64_u32 v[4:5], s[14:15], v3, s16, v[1:2]
	s_cbranch_execnz .LBB34_6
	s_branch .LBB34_14
.LBB34_12:                              ;   in Loop: Header=BB34_7 Depth=2
                                        ; implicit-def: $vgpr2
	s_branch .LBB34_9
.LBB34_13:                              ;   in Loop: Header=BB34_7 Depth=2
                                        ; implicit-def: $vgpr4
.LBB34_14:                              ;   in Loop: Header=BB34_7 Depth=2
	v_add_u32_e32 v4, v8, v10
	s_branch .LBB34_6
.LBB34_15:
	s_endpgm
	.section	.rodata,"a",@progbits
	.p2align	6, 0x0
	.amdhsa_kernel _ZN9rocsparseL10bsr_gatherILj16ELj16ELj4Ei21rocsparse_complex_numIfEEEv20rocsparse_direction_T2_PKS4_PKT3_PS7_S4_
		.amdhsa_group_segment_fixed_size 0
		.amdhsa_private_segment_fixed_size 0
		.amdhsa_kernarg_size 36
		.amdhsa_user_sgpr_count 6
		.amdhsa_user_sgpr_private_segment_buffer 1
		.amdhsa_user_sgpr_dispatch_ptr 0
		.amdhsa_user_sgpr_queue_ptr 0
		.amdhsa_user_sgpr_kernarg_segment_ptr 1
		.amdhsa_user_sgpr_dispatch_id 0
		.amdhsa_user_sgpr_flat_scratch_init 0
		.amdhsa_user_sgpr_private_segment_size 0
		.amdhsa_uses_dynamic_stack 0
		.amdhsa_system_sgpr_private_segment_wavefront_offset 0
		.amdhsa_system_sgpr_workgroup_id_x 1
		.amdhsa_system_sgpr_workgroup_id_y 0
		.amdhsa_system_sgpr_workgroup_id_z 0
		.amdhsa_system_sgpr_workgroup_info 0
		.amdhsa_system_vgpr_workitem_id 1
		.amdhsa_next_free_vgpr 12
		.amdhsa_next_free_sgpr 18
		.amdhsa_reserve_vcc 1
		.amdhsa_reserve_flat_scratch 0
		.amdhsa_float_round_mode_32 0
		.amdhsa_float_round_mode_16_64 0
		.amdhsa_float_denorm_mode_32 3
		.amdhsa_float_denorm_mode_16_64 3
		.amdhsa_dx10_clamp 1
		.amdhsa_ieee_mode 1
		.amdhsa_fp16_overflow 0
		.amdhsa_exception_fp_ieee_invalid_op 0
		.amdhsa_exception_fp_denorm_src 0
		.amdhsa_exception_fp_ieee_div_zero 0
		.amdhsa_exception_fp_ieee_overflow 0
		.amdhsa_exception_fp_ieee_underflow 0
		.amdhsa_exception_fp_ieee_inexact 0
		.amdhsa_exception_int_div_zero 0
	.end_amdhsa_kernel
	.section	.text._ZN9rocsparseL10bsr_gatherILj16ELj16ELj4Ei21rocsparse_complex_numIfEEEv20rocsparse_direction_T2_PKS4_PKT3_PS7_S4_,"axG",@progbits,_ZN9rocsparseL10bsr_gatherILj16ELj16ELj4Ei21rocsparse_complex_numIfEEEv20rocsparse_direction_T2_PKS4_PKT3_PS7_S4_,comdat
.Lfunc_end34:
	.size	_ZN9rocsparseL10bsr_gatherILj16ELj16ELj4Ei21rocsparse_complex_numIfEEEv20rocsparse_direction_T2_PKS4_PKT3_PS7_S4_, .Lfunc_end34-_ZN9rocsparseL10bsr_gatherILj16ELj16ELj4Ei21rocsparse_complex_numIfEEEv20rocsparse_direction_T2_PKS4_PKT3_PS7_S4_
                                        ; -- End function
	.set _ZN9rocsparseL10bsr_gatherILj16ELj16ELj4Ei21rocsparse_complex_numIfEEEv20rocsparse_direction_T2_PKS4_PKT3_PS7_S4_.num_vgpr, 12
	.set _ZN9rocsparseL10bsr_gatherILj16ELj16ELj4Ei21rocsparse_complex_numIfEEEv20rocsparse_direction_T2_PKS4_PKT3_PS7_S4_.num_agpr, 0
	.set _ZN9rocsparseL10bsr_gatherILj16ELj16ELj4Ei21rocsparse_complex_numIfEEEv20rocsparse_direction_T2_PKS4_PKT3_PS7_S4_.numbered_sgpr, 18
	.set _ZN9rocsparseL10bsr_gatherILj16ELj16ELj4Ei21rocsparse_complex_numIfEEEv20rocsparse_direction_T2_PKS4_PKT3_PS7_S4_.num_named_barrier, 0
	.set _ZN9rocsparseL10bsr_gatherILj16ELj16ELj4Ei21rocsparse_complex_numIfEEEv20rocsparse_direction_T2_PKS4_PKT3_PS7_S4_.private_seg_size, 0
	.set _ZN9rocsparseL10bsr_gatherILj16ELj16ELj4Ei21rocsparse_complex_numIfEEEv20rocsparse_direction_T2_PKS4_PKT3_PS7_S4_.uses_vcc, 1
	.set _ZN9rocsparseL10bsr_gatherILj16ELj16ELj4Ei21rocsparse_complex_numIfEEEv20rocsparse_direction_T2_PKS4_PKT3_PS7_S4_.uses_flat_scratch, 0
	.set _ZN9rocsparseL10bsr_gatherILj16ELj16ELj4Ei21rocsparse_complex_numIfEEEv20rocsparse_direction_T2_PKS4_PKT3_PS7_S4_.has_dyn_sized_stack, 0
	.set _ZN9rocsparseL10bsr_gatherILj16ELj16ELj4Ei21rocsparse_complex_numIfEEEv20rocsparse_direction_T2_PKS4_PKT3_PS7_S4_.has_recursion, 0
	.set _ZN9rocsparseL10bsr_gatherILj16ELj16ELj4Ei21rocsparse_complex_numIfEEEv20rocsparse_direction_T2_PKS4_PKT3_PS7_S4_.has_indirect_call, 0
	.section	.AMDGPU.csdata,"",@progbits
; Kernel info:
; codeLenInByte = 400
; TotalNumSgprs: 22
; NumVgprs: 12
; ScratchSize: 0
; MemoryBound: 0
; FloatMode: 240
; IeeeMode: 1
; LDSByteSize: 0 bytes/workgroup (compile time only)
; SGPRBlocks: 2
; VGPRBlocks: 2
; NumSGPRsForWavesPerEU: 22
; NumVGPRsForWavesPerEU: 12
; Occupancy: 10
; WaveLimiterHint : 0
; COMPUTE_PGM_RSRC2:SCRATCH_EN: 0
; COMPUTE_PGM_RSRC2:USER_SGPR: 6
; COMPUTE_PGM_RSRC2:TRAP_HANDLER: 0
; COMPUTE_PGM_RSRC2:TGID_X_EN: 1
; COMPUTE_PGM_RSRC2:TGID_Y_EN: 0
; COMPUTE_PGM_RSRC2:TGID_Z_EN: 0
; COMPUTE_PGM_RSRC2:TIDIG_COMP_CNT: 1
	.section	.text._ZN9rocsparseL10bsr_gatherILj64ELj4ELj8Ei21rocsparse_complex_numIfEEEv20rocsparse_direction_T2_PKS4_PKT3_PS7_S4_,"axG",@progbits,_ZN9rocsparseL10bsr_gatherILj64ELj4ELj8Ei21rocsparse_complex_numIfEEEv20rocsparse_direction_T2_PKS4_PKT3_PS7_S4_,comdat
	.globl	_ZN9rocsparseL10bsr_gatherILj64ELj4ELj8Ei21rocsparse_complex_numIfEEEv20rocsparse_direction_T2_PKS4_PKT3_PS7_S4_ ; -- Begin function _ZN9rocsparseL10bsr_gatherILj64ELj4ELj8Ei21rocsparse_complex_numIfEEEv20rocsparse_direction_T2_PKS4_PKT3_PS7_S4_
	.p2align	8
	.type	_ZN9rocsparseL10bsr_gatherILj64ELj4ELj8Ei21rocsparse_complex_numIfEEEv20rocsparse_direction_T2_PKS4_PKT3_PS7_S4_,@function
_ZN9rocsparseL10bsr_gatherILj64ELj4ELj8Ei21rocsparse_complex_numIfEEEv20rocsparse_direction_T2_PKS4_PKT3_PS7_S4_: ; @_ZN9rocsparseL10bsr_gatherILj64ELj4ELj8Ei21rocsparse_complex_numIfEEEv20rocsparse_direction_T2_PKS4_PKT3_PS7_S4_
; %bb.0:
	s_load_dwordx2 s[8:9], s[4:5], 0x0
	v_lshl_add_u32 v2, s6, 2, v1
	s_waitcnt lgkmcnt(0)
	v_cmp_gt_i32_e32 vcc, s9, v2
	s_and_saveexec_b64 s[0:1], vcc
	s_cbranch_execz .LBB35_15
; %bb.1:
	s_load_dword s16, s[4:5], 0x20
	v_and_b32_e32 v1, 7, v0
	s_waitcnt lgkmcnt(0)
	v_cmp_gt_i32_e32 vcc, s16, v1
	s_and_b64 exec, exec, vcc
	s_cbranch_execz .LBB35_15
; %bb.2:
	s_load_dwordx4 s[0:3], s[4:5], 0x8
	s_load_dwordx2 s[6:7], s[4:5], 0x18
	v_ashrrev_i32_e32 v3, 31, v2
	v_lshlrev_b64 v[3:4], 2, v[2:3]
	v_mul_lo_u32 v6, s16, v2
	s_waitcnt lgkmcnt(0)
	v_mov_b32_e32 v5, s1
	v_add_co_u32_e32 v3, vcc, s0, v3
	v_addc_co_u32_e32 v4, vcc, v5, v4, vcc
	global_load_dword v3, v[3:4], off
	v_add_u32_e32 v2, v6, v1
	v_mul_lo_u32 v8, s16, v2
	v_lshrrev_b32_e32 v0, 3, v0
	s_cmp_lg_u32 s8, 0
	v_cmp_gt_u32_e64 s[0:1], s16, v0
	s_cselect_b64 s[4:5], -1, 0
	s_lshl_b32 s17, s16, 3
	s_mov_b64 s[8:9], 0
	s_waitcnt vmcnt(0)
	v_mul_lo_u32 v7, v3, s16
	v_add_u32_e32 v2, v7, v1
	v_mul_lo_u32 v9, s16, v2
	s_branch .LBB35_4
.LBB35_3:                               ;   in Loop: Header=BB35_4 Depth=1
	s_or_b64 exec, exec, s[10:11]
	v_add_u32_e32 v1, 8, v1
	v_cmp_le_i32_e32 vcc, s16, v1
	v_add_u32_e32 v8, s17, v8
	s_or_b64 s[8:9], vcc, s[8:9]
	v_add_u32_e32 v9, s17, v9
	s_andn2_b64 exec, exec, s[8:9]
	s_cbranch_execz .LBB35_15
.LBB35_4:                               ; =>This Loop Header: Depth=1
                                        ;     Child Loop BB35_7 Depth 2
	s_and_saveexec_b64 s[10:11], s[0:1]
	s_cbranch_execz .LBB35_3
; %bb.5:                                ;   in Loop: Header=BB35_4 Depth=1
	s_mov_b64 s[12:13], 0
	v_mov_b32_e32 v10, v0
	s_branch .LBB35_7
.LBB35_6:                               ;   in Loop: Header=BB35_7 Depth=2
	v_ashrrev_i32_e32 v3, 31, v2
	v_lshlrev_b64 v[2:3], 3, v[2:3]
	v_mov_b32_e32 v5, s3
	v_add_co_u32_e32 v2, vcc, s2, v2
	v_addc_co_u32_e32 v3, vcc, v5, v3, vcc
	global_load_dwordx2 v[2:3], v[2:3], off
	v_ashrrev_i32_e32 v5, 31, v4
	v_lshlrev_b64 v[4:5], 3, v[4:5]
	v_mov_b32_e32 v11, s7
	v_add_co_u32_e32 v4, vcc, s6, v4
	v_addc_co_u32_e32 v5, vcc, v11, v5, vcc
	v_add_u32_e32 v10, 8, v10
	v_cmp_le_i32_e32 vcc, s16, v10
	s_or_b64 s[12:13], vcc, s[12:13]
	s_waitcnt vmcnt(0)
	global_store_dwordx2 v[4:5], v[2:3], off
	s_andn2_b64 exec, exec, s[12:13]
	s_cbranch_execz .LBB35_3
.LBB35_7:                               ;   Parent Loop BB35_4 Depth=1
                                        ; =>  This Inner Loop Header: Depth=2
	s_and_b64 vcc, exec, s[4:5]
	s_cbranch_vccz .LBB35_12
; %bb.8:                                ;   in Loop: Header=BB35_7 Depth=2
	v_add_u32_e32 v2, v9, v10
	s_cbranch_execnz .LBB35_10
.LBB35_9:                               ;   in Loop: Header=BB35_7 Depth=2
	v_add_u32_e32 v2, v10, v7
	v_mad_u64_u32 v[2:3], s[14:15], v2, s16, v[1:2]
.LBB35_10:                              ;   in Loop: Header=BB35_7 Depth=2
	s_and_b64 vcc, exec, s[4:5]
	s_cbranch_vccz .LBB35_13
; %bb.11:                               ;   in Loop: Header=BB35_7 Depth=2
	v_add_u32_e32 v3, v10, v6
	v_mad_u64_u32 v[4:5], s[14:15], v3, s16, v[1:2]
	s_cbranch_execnz .LBB35_6
	s_branch .LBB35_14
.LBB35_12:                              ;   in Loop: Header=BB35_7 Depth=2
                                        ; implicit-def: $vgpr2
	s_branch .LBB35_9
.LBB35_13:                              ;   in Loop: Header=BB35_7 Depth=2
                                        ; implicit-def: $vgpr4
.LBB35_14:                              ;   in Loop: Header=BB35_7 Depth=2
	v_add_u32_e32 v4, v8, v10
	s_branch .LBB35_6
.LBB35_15:
	s_endpgm
	.section	.rodata,"a",@progbits
	.p2align	6, 0x0
	.amdhsa_kernel _ZN9rocsparseL10bsr_gatherILj64ELj4ELj8Ei21rocsparse_complex_numIfEEEv20rocsparse_direction_T2_PKS4_PKT3_PS7_S4_
		.amdhsa_group_segment_fixed_size 0
		.amdhsa_private_segment_fixed_size 0
		.amdhsa_kernarg_size 36
		.amdhsa_user_sgpr_count 6
		.amdhsa_user_sgpr_private_segment_buffer 1
		.amdhsa_user_sgpr_dispatch_ptr 0
		.amdhsa_user_sgpr_queue_ptr 0
		.amdhsa_user_sgpr_kernarg_segment_ptr 1
		.amdhsa_user_sgpr_dispatch_id 0
		.amdhsa_user_sgpr_flat_scratch_init 0
		.amdhsa_user_sgpr_private_segment_size 0
		.amdhsa_uses_dynamic_stack 0
		.amdhsa_system_sgpr_private_segment_wavefront_offset 0
		.amdhsa_system_sgpr_workgroup_id_x 1
		.amdhsa_system_sgpr_workgroup_id_y 0
		.amdhsa_system_sgpr_workgroup_id_z 0
		.amdhsa_system_sgpr_workgroup_info 0
		.amdhsa_system_vgpr_workitem_id 1
		.amdhsa_next_free_vgpr 12
		.amdhsa_next_free_sgpr 18
		.amdhsa_reserve_vcc 1
		.amdhsa_reserve_flat_scratch 0
		.amdhsa_float_round_mode_32 0
		.amdhsa_float_round_mode_16_64 0
		.amdhsa_float_denorm_mode_32 3
		.amdhsa_float_denorm_mode_16_64 3
		.amdhsa_dx10_clamp 1
		.amdhsa_ieee_mode 1
		.amdhsa_fp16_overflow 0
		.amdhsa_exception_fp_ieee_invalid_op 0
		.amdhsa_exception_fp_denorm_src 0
		.amdhsa_exception_fp_ieee_div_zero 0
		.amdhsa_exception_fp_ieee_overflow 0
		.amdhsa_exception_fp_ieee_underflow 0
		.amdhsa_exception_fp_ieee_inexact 0
		.amdhsa_exception_int_div_zero 0
	.end_amdhsa_kernel
	.section	.text._ZN9rocsparseL10bsr_gatherILj64ELj4ELj8Ei21rocsparse_complex_numIfEEEv20rocsparse_direction_T2_PKS4_PKT3_PS7_S4_,"axG",@progbits,_ZN9rocsparseL10bsr_gatherILj64ELj4ELj8Ei21rocsparse_complex_numIfEEEv20rocsparse_direction_T2_PKS4_PKT3_PS7_S4_,comdat
.Lfunc_end35:
	.size	_ZN9rocsparseL10bsr_gatherILj64ELj4ELj8Ei21rocsparse_complex_numIfEEEv20rocsparse_direction_T2_PKS4_PKT3_PS7_S4_, .Lfunc_end35-_ZN9rocsparseL10bsr_gatherILj64ELj4ELj8Ei21rocsparse_complex_numIfEEEv20rocsparse_direction_T2_PKS4_PKT3_PS7_S4_
                                        ; -- End function
	.set _ZN9rocsparseL10bsr_gatherILj64ELj4ELj8Ei21rocsparse_complex_numIfEEEv20rocsparse_direction_T2_PKS4_PKT3_PS7_S4_.num_vgpr, 12
	.set _ZN9rocsparseL10bsr_gatherILj64ELj4ELj8Ei21rocsparse_complex_numIfEEEv20rocsparse_direction_T2_PKS4_PKT3_PS7_S4_.num_agpr, 0
	.set _ZN9rocsparseL10bsr_gatherILj64ELj4ELj8Ei21rocsparse_complex_numIfEEEv20rocsparse_direction_T2_PKS4_PKT3_PS7_S4_.numbered_sgpr, 18
	.set _ZN9rocsparseL10bsr_gatherILj64ELj4ELj8Ei21rocsparse_complex_numIfEEEv20rocsparse_direction_T2_PKS4_PKT3_PS7_S4_.num_named_barrier, 0
	.set _ZN9rocsparseL10bsr_gatherILj64ELj4ELj8Ei21rocsparse_complex_numIfEEEv20rocsparse_direction_T2_PKS4_PKT3_PS7_S4_.private_seg_size, 0
	.set _ZN9rocsparseL10bsr_gatherILj64ELj4ELj8Ei21rocsparse_complex_numIfEEEv20rocsparse_direction_T2_PKS4_PKT3_PS7_S4_.uses_vcc, 1
	.set _ZN9rocsparseL10bsr_gatherILj64ELj4ELj8Ei21rocsparse_complex_numIfEEEv20rocsparse_direction_T2_PKS4_PKT3_PS7_S4_.uses_flat_scratch, 0
	.set _ZN9rocsparseL10bsr_gatherILj64ELj4ELj8Ei21rocsparse_complex_numIfEEEv20rocsparse_direction_T2_PKS4_PKT3_PS7_S4_.has_dyn_sized_stack, 0
	.set _ZN9rocsparseL10bsr_gatherILj64ELj4ELj8Ei21rocsparse_complex_numIfEEEv20rocsparse_direction_T2_PKS4_PKT3_PS7_S4_.has_recursion, 0
	.set _ZN9rocsparseL10bsr_gatherILj64ELj4ELj8Ei21rocsparse_complex_numIfEEEv20rocsparse_direction_T2_PKS4_PKT3_PS7_S4_.has_indirect_call, 0
	.section	.AMDGPU.csdata,"",@progbits
; Kernel info:
; codeLenInByte = 400
; TotalNumSgprs: 22
; NumVgprs: 12
; ScratchSize: 0
; MemoryBound: 0
; FloatMode: 240
; IeeeMode: 1
; LDSByteSize: 0 bytes/workgroup (compile time only)
; SGPRBlocks: 2
; VGPRBlocks: 2
; NumSGPRsForWavesPerEU: 22
; NumVGPRsForWavesPerEU: 12
; Occupancy: 10
; WaveLimiterHint : 0
; COMPUTE_PGM_RSRC2:SCRATCH_EN: 0
; COMPUTE_PGM_RSRC2:USER_SGPR: 6
; COMPUTE_PGM_RSRC2:TRAP_HANDLER: 0
; COMPUTE_PGM_RSRC2:TGID_X_EN: 1
; COMPUTE_PGM_RSRC2:TGID_Y_EN: 0
; COMPUTE_PGM_RSRC2:TGID_Z_EN: 0
; COMPUTE_PGM_RSRC2:TIDIG_COMP_CNT: 1
	.section	.text._ZN9rocsparseL24bsrsm_upper_large_kernelILj256ELj16ELb1E21rocsparse_complex_numIfEEEviiPKiS4_PKT2_iPS5_iPiS4_S9_21rocsparse_index_base_20rocsparse_diag_type_20rocsparse_direction_,"axG",@progbits,_ZN9rocsparseL24bsrsm_upper_large_kernelILj256ELj16ELb1E21rocsparse_complex_numIfEEEviiPKiS4_PKT2_iPS5_iPiS4_S9_21rocsparse_index_base_20rocsparse_diag_type_20rocsparse_direction_,comdat
	.globl	_ZN9rocsparseL24bsrsm_upper_large_kernelILj256ELj16ELb1E21rocsparse_complex_numIfEEEviiPKiS4_PKT2_iPS5_iPiS4_S9_21rocsparse_index_base_20rocsparse_diag_type_20rocsparse_direction_ ; -- Begin function _ZN9rocsparseL24bsrsm_upper_large_kernelILj256ELj16ELb1E21rocsparse_complex_numIfEEEviiPKiS4_PKT2_iPS5_iPiS4_S9_21rocsparse_index_base_20rocsparse_diag_type_20rocsparse_direction_
	.p2align	8
	.type	_ZN9rocsparseL24bsrsm_upper_large_kernelILj256ELj16ELb1E21rocsparse_complex_numIfEEEviiPKiS4_PKT2_iPS5_iPiS4_S9_21rocsparse_index_base_20rocsparse_diag_type_20rocsparse_direction_,@function
_ZN9rocsparseL24bsrsm_upper_large_kernelILj256ELj16ELb1E21rocsparse_complex_numIfEEEviiPKiS4_PKT2_iPS5_iPiS4_S9_21rocsparse_index_base_20rocsparse_diag_type_20rocsparse_direction_: ; @_ZN9rocsparseL24bsrsm_upper_large_kernelILj256ELj16ELb1E21rocsparse_complex_numIfEEEviiPKiS4_PKT2_iPS5_iPiS4_S9_21rocsparse_index_base_20rocsparse_diag_type_20rocsparse_direction_
; %bb.0:
	s_load_dwordx2 s[24:25], s[4:5], 0x0
	s_load_dwordx4 s[16:19], s[4:5], 0x8
	s_load_dwordx4 s[8:11], s[4:5], 0x38
	s_load_dwordx2 s[20:21], s[4:5], 0x48
	v_lshrrev_b32_e32 v5, 4, v0
	v_and_b32_e32 v8, 15, v0
	s_waitcnt lgkmcnt(0)
	v_cvt_f32_u32_e32 v1, s24
	s_sub_i32 s0, 0, s24
	v_rcp_iflag_f32_e32 v1, v1
	v_mul_f32_e32 v1, 0x4f7ffffe, v1
	v_cvt_u32_f32_e32 v1, v1
	v_readfirstlane_b32 s1, v1
	s_mul_i32 s0, s0, s1
	s_mul_hi_u32 s0, s1, s0
	s_add_i32 s1, s1, s0
	s_mul_hi_u32 s0, s6, s1
	s_mul_i32 s1, s0, s24
	s_sub_i32 s1, s6, s1
	s_add_i32 s2, s0, 1
	s_sub_i32 s3, s1, s24
	s_cmp_ge_u32 s1, s24
	s_cselect_b32 s0, s2, s0
	s_cselect_b32 s1, s3, s1
	s_add_i32 s2, s0, 1
	s_cmp_ge_u32 s1, s24
	s_cselect_b32 s26, s2, s0
	s_mul_i32 s33, s26, s24
	s_sub_i32 s0, s6, s33
	s_ashr_i32 s1, s0, 31
	s_lshl_b64 s[0:1], s[0:1], 2
	s_add_u32 s0, s10, s0
	s_addc_u32 s1, s11, s1
	s_load_dword s6, s[0:1], 0x0
	s_load_dwordx2 s[10:11], s[4:5], 0x18
	s_load_dword s34, s[4:5], 0x20
	s_load_dwordx2 s[22:23], s[4:5], 0x28
	s_load_dword s35, s[4:5], 0x30
	s_load_dwordx4 s[12:15], s[4:5], 0x50
	s_waitcnt lgkmcnt(0)
	s_ashr_i32 s7, s6, 31
	s_lshl_b64 s[0:1], s[6:7], 2
	s_add_u32 s0, s16, s0
	s_addc_u32 s1, s17, s1
	s_load_dwordx2 s[2:3], s[0:1], 0x0
	s_lshl_b32 s36, s26, 4
	s_not_b32 s0, s12
	v_or_b32_e32 v1, s36, v5
	v_cmp_gt_i32_e32 vcc, s25, v1
	s_waitcnt lgkmcnt(0)
	s_sub_i32 s15, s2, s12
	s_add_i32 s4, s3, s0
	s_cmp_lt_i32 s4, s15
	s_mul_i32 s7, s6, s34
	v_cmp_eq_u32_e64 s[0:1], 0, v0
	s_cbranch_scc1 .LBB36_20
; %bb.1:
	s_mul_i32 s5, s34, s4
	v_add_u32_e32 v2, s5, v8
	v_mul_lo_u32 v6, s34, v2
	v_cmp_gt_i32_e64 s[2:3], s34, v8
	s_cmp_lg_u32 s14, 0
	s_cselect_b64 s[16:17], -1, 0
	s_and_b64 s[2:3], vcc, s[2:3]
	s_mul_i32 s37, s35, s34
	s_mul_i32 s38, s34, s34
	s_lshl_b32 s39, s34, 4
	v_mov_b32_e32 v7, 0
	s_branch .LBB36_3
.LBB36_2:                               ;   in Loop: Header=BB36_3 Depth=1
                                        ; implicit-def: $vgpr6
	s_and_b64 vcc, exec, s[26:27]
	s_cbranch_vccnz .LBB36_21
.LBB36_3:                               ; =>This Loop Header: Depth=1
                                        ;     Child Loop BB36_18 Depth 2
                                        ;       Child Loop BB36_19 Depth 3
                                        ;     Child Loop BB36_9 Depth 2
                                        ;       Child Loop BB36_11 Depth 3
	s_ashr_i32 s5, s4, 31
	s_lshl_b64 s[26:27], s[4:5], 2
	s_add_u32 s26, s18, s26
	s_addc_u32 s27, s19, s27
	global_load_dword v2, v7, s[26:27]
	s_mov_b64 s[26:27], -1
	s_waitcnt vmcnt(0)
	v_readfirstlane_b32 s5, v2
	s_sub_i32 s5, s5, s12
	s_cmp_le_i32 s5, s6
	s_cbranch_scc1 .LBB36_2
; %bb.4:                                ;   in Loop: Header=BB36_3 Depth=1
	s_and_saveexec_b64 s[26:27], s[0:1]
	s_cbranch_execz .LBB36_6
; %bb.5:                                ;   in Loop: Header=BB36_3 Depth=1
	s_add_i32 s28, s5, s33
	s_ashr_i32 s29, s28, 31
	s_lshl_b64 s[28:29], s[28:29], 2
	s_add_u32 s28, s8, s28
	s_addc_u32 s29, s9, s29
	global_load_dword v2, v7, s[28:29] glc
	s_waitcnt vmcnt(0)
	v_cmp_ne_u32_e32 vcc, 0, v2
	s_cbranch_vccz .LBB36_16
.LBB36_6:                               ;   in Loop: Header=BB36_3 Depth=1
	s_or_b64 exec, exec, s[26:27]
	buffer_wbinvl1_vol
	s_barrier
	s_and_saveexec_b64 s[26:27], s[2:3]
	s_cbranch_execz .LBB36_15
; %bb.7:                                ;   in Loop: Header=BB36_3 Depth=1
	s_mul_i32 s28, s37, s5
	s_mul_i32 s40, s4, s34
	v_add_u32_e32 v9, s28, v1
	s_mov_b64 s[28:29], 0
	v_mov_b32_e32 v10, v6
	v_mov_b32_e32 v11, v8
	s_branch .LBB36_9
.LBB36_8:                               ;   in Loop: Header=BB36_9 Depth=2
	v_add_u32_e32 v2, s7, v11
	v_mad_u64_u32 v[2:3], s[30:31], v2, s35, v[1:2]
	v_mov_b32_e32 v4, s23
	v_add_u32_e32 v11, 16, v11
	v_ashrrev_i32_e32 v3, 31, v2
	v_lshlrev_b64 v[2:3], 3, v[2:3]
	v_add_u32_e32 v10, s39, v10
	v_add_co_u32_e32 v2, vcc, s22, v2
	v_addc_co_u32_e32 v3, vcc, v4, v3, vcc
	global_load_dwordx2 v[14:15], v[2:3], off
	v_cmp_le_i32_e32 vcc, s34, v11
	s_or_b64 s[28:29], vcc, s[28:29]
	s_waitcnt vmcnt(0)
	v_sub_f32_e32 v13, v14, v13
	v_sub_f32_e32 v14, v15, v12
	global_store_dwordx2 v[2:3], v[13:14], off
	s_andn2_b64 exec, exec, s[28:29]
	s_cbranch_execz .LBB36_15
.LBB36_9:                               ;   Parent Loop BB36_3 Depth=1
                                        ; =>  This Loop Header: Depth=2
                                        ;       Child Loop BB36_11 Depth 3
	v_mov_b32_e32 v12, 0
	s_mov_b32 s41, 0
	v_mov_b32_e32 v2, v9
	v_mov_b32_e32 v13, 0
	s_branch .LBB36_11
.LBB36_10:                              ;   in Loop: Header=BB36_11 Depth=3
	v_ashrrev_i32_e32 v4, 31, v3
	v_lshlrev_b64 v[3:4], 3, v[3:4]
	v_mov_b32_e32 v14, s11
	v_add_co_u32_e32 v3, vcc, s10, v3
	v_addc_co_u32_e32 v4, vcc, v14, v4, vcc
	global_load_dwordx2 v[14:15], v[3:4], off
	v_ashrrev_i32_e32 v3, 31, v2
	v_lshlrev_b64 v[3:4], 3, v[2:3]
	v_mov_b32_e32 v16, s23
	v_add_co_u32_e32 v3, vcc, s22, v3
	v_addc_co_u32_e32 v4, vcc, v16, v4, vcc
	global_load_dwordx2 v[3:4], v[3:4], off
	s_add_i32 s41, s41, 1
	s_cmp_eq_u32 s34, s41
	v_add_u32_e32 v2, s35, v2
	s_waitcnt vmcnt(0)
	v_fmac_f32_e32 v13, v14, v3
	v_fmac_f32_e32 v12, v15, v3
	v_fma_f32 v13, -v15, v4, v13
	v_fmac_f32_e32 v12, v14, v4
	s_cbranch_scc1 .LBB36_8
.LBB36_11:                              ;   Parent Loop BB36_3 Depth=1
                                        ;     Parent Loop BB36_9 Depth=2
                                        ; =>    This Inner Loop Header: Depth=3
	s_and_b64 vcc, exec, s[16:17]
	s_cbranch_vccz .LBB36_13
; %bb.12:                               ;   in Loop: Header=BB36_11 Depth=3
	s_add_i32 s30, s41, s40
	s_mul_i32 s30, s30, s34
	v_add_u32_e32 v3, s30, v11
	s_cbranch_execnz .LBB36_10
	s_branch .LBB36_14
.LBB36_13:                              ;   in Loop: Header=BB36_11 Depth=3
                                        ; implicit-def: $vgpr3
.LBB36_14:                              ;   in Loop: Header=BB36_11 Depth=3
	v_add_u32_e32 v3, s41, v10
	s_branch .LBB36_10
.LBB36_15:                              ;   in Loop: Header=BB36_3 Depth=1
	s_or_b64 exec, exec, s[26:27]
	s_add_i32 s28, s4, -1
	s_cmp_le_i32 s4, s15
	v_subrev_u32_e32 v6, s38, v6
	s_cselect_b64 s[26:27], -1, 0
	s_mov_b32 s4, s28
	s_and_b64 vcc, exec, s[26:27]
	s_cbranch_vccz .LBB36_3
	s_branch .LBB36_21
.LBB36_16:                              ;   in Loop: Header=BB36_3 Depth=1
	s_mov_b32 s30, 0
	s_branch .LBB36_18
.LBB36_17:                              ;   in Loop: Header=BB36_18 Depth=2
	global_load_dword v2, v7, s[28:29] glc
	s_cmpk_lt_u32 s30, 0xf43
	s_cselect_b64 s[40:41], -1, 0
	s_cmp_lg_u64 s[40:41], 0
	s_addc_u32 s30, s30, 0
	s_waitcnt vmcnt(0)
	v_cmp_ne_u32_e32 vcc, 0, v2
	s_cbranch_vccnz .LBB36_6
.LBB36_18:                              ;   Parent Loop BB36_3 Depth=1
                                        ; =>  This Loop Header: Depth=2
                                        ;       Child Loop BB36_19 Depth 3
	s_cmp_eq_u32 s30, 0
	s_mov_b32 s31, s30
	s_cbranch_scc1 .LBB36_17
.LBB36_19:                              ;   Parent Loop BB36_3 Depth=1
                                        ;     Parent Loop BB36_18 Depth=2
                                        ; =>    This Inner Loop Header: Depth=3
	s_add_i32 s31, s31, -1
	s_cmp_eq_u32 s31, 0
	s_sleep 1
	s_cbranch_scc0 .LBB36_19
	s_branch .LBB36_17
.LBB36_20:
	s_mov_b32 s5, s24
.LBB36_21:
	s_cmp_lt_i32 s6, s24
	s_cselect_b64 s[16:17], -1, 0
	s_cmp_eq_u32 s6, s5
	s_cselect_b64 s[0:1], -1, 0
	v_cmp_gt_i32_e32 vcc, s25, v1
	s_and_b64 s[0:1], vcc, s[0:1]
	s_cmp_gt_i32 s34, 0
	s_cselect_b64 s[2:3], -1, 0
	s_and_b64 s[0:1], s[0:1], s[2:3]
	s_and_b64 s[2:3], s[0:1], s[16:17]
	s_mov_b64 s[0:1], 0
	s_and_saveexec_b64 s[18:19], s[2:3]
	s_cbranch_execz .LBB36_38
; %bb.22:
	v_add_u32_e32 v2, s7, v8
	s_cmp_eq_u32 s13, 0
	v_mul_lo_u32 v2, s35, v2
	s_cselect_b64 s[0:1], -1, 0
	s_cmp_lg_u32 s14, 0
	s_cselect_b64 s[14:15], -1, 0
	s_add_i32 s2, s4, 1
	s_mul_i32 s2, s34, s2
	v_add3_u32 v9, v5, v2, s36
	s_add_i32 s2, s2, -1
	v_cndmask_b32_e64 v2, 0, 1, s[0:1]
	s_mul_i32 s13, s4, s34
	s_lshl_b32 s28, s35, 4
	s_mul_i32 s29, s34, s2
	s_mov_b64 s[4:5], 0
	v_cmp_ne_u32_e64 s[0:1], 1, v2
	v_mov_b32_e32 v10, 0
	v_mov_b32_e32 v11, s23
	s_mov_b32 s30, s34
.LBB36_23:                              ; =>This Loop Header: Depth=1
                                        ;     Child Loop BB36_30 Depth 2
	s_add_i32 s31, s30, -1
	v_mov_b32_e32 v4, 1.0
	s_and_b64 vcc, exec, s[0:1]
	v_mov_b32_e32 v5, 0
	s_cbranch_vccnz .LBB36_25
; %bb.24:                               ;   in Loop: Header=BB36_23 Depth=1
	s_add_i32 s2, s31, s13
	s_mul_i32 s2, s2, s34
	s_add_i32 s2, s2, s31
	s_ashr_i32 s3, s2, 31
	s_lshl_b64 s[2:3], s[2:3], 3
	s_add_u32 s2, s10, s2
	s_addc_u32 s3, s11, s3
	global_load_dwordx2 v[4:5], v10, s[2:3]
.LBB36_25:                              ;   in Loop: Header=BB36_23 Depth=1
	s_add_i32 s2, s31, s7
	s_mul_i32 s2, s2, s35
	s_waitcnt vmcnt(0)
	v_add_u32_e32 v2, s2, v1
	v_ashrrev_i32_e32 v3, 31, v2
	v_lshlrev_b64 v[2:3], 3, v[2:3]
	s_waitcnt vmcnt(0)
	v_cmp_eq_f32_e64 s[2:3], 0, v5
	v_add_co_u32_e32 v6, vcc, s22, v2
	v_addc_co_u32_e32 v7, vcc, v11, v3, vcc
	global_load_dwordx2 v[2:3], v[6:7], off
	v_cmp_eq_f32_e32 vcc, 0, v4
	s_and_b64 s[24:25], vcc, s[2:3]
	s_mov_b64 s[2:3], -1
	s_and_b64 vcc, exec, s[24:25]
	s_cbranch_vccnz .LBB36_27
; %bb.26:                               ;   in Loop: Header=BB36_23 Depth=1
	v_mul_f32_e32 v12, v5, v5
	v_fmac_f32_e32 v12, v4, v4
	v_div_scale_f32 v13, s[2:3], v12, v12, 1.0
	v_div_scale_f32 v14, vcc, 1.0, v12, 1.0
	s_mov_b64 s[2:3], s[4:5]
	v_rcp_f32_e32 v15, v13
	v_fma_f32 v16, -v13, v15, 1.0
	v_fmac_f32_e32 v15, v16, v15
	v_mul_f32_e32 v16, v14, v15
	v_fma_f32 v17, -v13, v16, v14
	v_fmac_f32_e32 v16, v17, v15
	v_fma_f32 v13, -v13, v16, v14
	v_div_fmas_f32 v13, v13, v15, v16
	s_waitcnt vmcnt(0)
	v_mul_f32_e32 v14, v5, v3
	v_mul_f32_e64 v5, v5, -v2
	v_fmac_f32_e32 v14, v2, v4
	v_fmac_f32_e32 v5, v3, v4
	v_div_fixup_f32 v3, v13, v12, 1.0
	v_mul_f32_e32 v2, v3, v14
	v_mul_f32_e32 v3, v3, v5
	global_store_dwordx2 v[6:7], v[2:3], off
.LBB36_27:                              ;   in Loop: Header=BB36_23 Depth=1
	v_cmp_gt_i32_e32 vcc, s31, v8
	s_and_saveexec_b64 s[4:5], vcc
	s_cbranch_execz .LBB36_34
; %bb.28:                               ;   in Loop: Header=BB36_23 Depth=1
	s_mov_b64 s[24:25], 0
	v_mov_b32_e32 v4, v9
	v_mov_b32_e32 v7, v8
	s_branch .LBB36_30
.LBB36_29:                              ;   in Loop: Header=BB36_30 Depth=2
	v_ashrrev_i32_e32 v6, 31, v5
	v_lshlrev_b64 v[5:6], 3, v[5:6]
	v_mov_b32_e32 v12, s11
	v_add_co_u32_e32 v5, vcc, s10, v5
	v_addc_co_u32_e32 v6, vcc, v12, v6, vcc
	global_load_dwordx2 v[12:13], v[5:6], off
	v_ashrrev_i32_e32 v5, 31, v4
	v_lshlrev_b64 v[5:6], 3, v[4:5]
	v_mov_b32_e32 v14, s23
	v_add_co_u32_e32 v5, vcc, s22, v5
	v_addc_co_u32_e32 v6, vcc, v14, v6, vcc
	global_load_dwordx2 v[14:15], v[5:6], off
	v_add_u32_e32 v7, 16, v7
	v_cmp_le_i32_e32 vcc, s31, v7
	s_or_b64 s[24:25], vcc, s[24:25]
	v_add_u32_e32 v4, s28, v4
	s_waitcnt vmcnt(1)
	v_mul_f32_e64 v16, v13, -v3
	v_mul_f32_e32 v13, v2, v13
	v_fmac_f32_e32 v16, v2, v12
	v_fmac_f32_e32 v13, v3, v12
	s_waitcnt vmcnt(0)
	v_sub_f32_e32 v12, v14, v16
	v_sub_f32_e32 v13, v15, v13
	global_store_dwordx2 v[5:6], v[12:13], off
	s_andn2_b64 exec, exec, s[24:25]
	s_cbranch_execz .LBB36_34
.LBB36_30:                              ;   Parent Loop BB36_23 Depth=1
                                        ; =>  This Inner Loop Header: Depth=2
	s_and_b64 vcc, exec, s[14:15]
	s_cbranch_vccz .LBB36_32
; %bb.31:                               ;   in Loop: Header=BB36_30 Depth=2
	v_add_u32_e32 v5, s29, v7
	s_cbranch_execnz .LBB36_29
	s_branch .LBB36_33
.LBB36_32:                              ;   in Loop: Header=BB36_30 Depth=2
                                        ; implicit-def: $vgpr5
.LBB36_33:                              ;   in Loop: Header=BB36_30 Depth=2
	v_add_u32_e32 v5, s13, v7
	v_mul_lo_u32 v5, v5, s34
	v_add_u32_e32 v5, s31, v5
	s_branch .LBB36_29
.LBB36_34:                              ;   in Loop: Header=BB36_23 Depth=1
	s_or_b64 exec, exec, s[4:5]
; %bb.35:                               ;   in Loop: Header=BB36_23 Depth=1
	s_sub_i32 s29, s29, s34
	s_cmp_lt_i32 s30, 2
	s_cbranch_scc1 .LBB36_37
; %bb.36:                               ;   in Loop: Header=BB36_23 Depth=1
	s_mov_b32 s30, s31
	s_mov_b64 s[4:5], s[2:3]
	s_branch .LBB36_23
.LBB36_37:
	s_and_b64 s[0:1], s[2:3], exec
.LBB36_38:
	s_or_b64 exec, exec, s[18:19]
	v_cmp_eq_u32_e32 vcc, 0, v0
	s_and_b64 s[2:3], vcc, s[16:17]
	s_waitcnt vmcnt(0)
	buffer_wbinvl1_vol
	s_barrier
	s_and_saveexec_b64 s[4:5], s[2:3]
	s_cbranch_execz .LBB36_42
; %bb.39:
	s_add_i32 s2, s6, s33
	s_ashr_i32 s3, s2, 31
	s_lshl_b64 s[2:3], s[2:3], 2
	s_add_u32 s2, s8, s2
	s_addc_u32 s3, s9, s3
	v_mov_b32_e32 v0, 0
	v_mov_b32_e32 v1, 1
	global_store_dword v0, v1, s[2:3]
	s_and_b64 exec, exec, s[0:1]
	s_cbranch_execz .LBB36_42
; %bb.40:
	v_mbcnt_lo_u32_b32 v0, exec_lo, 0
	v_mbcnt_hi_u32_b32 v0, exec_hi, v0
	v_cmp_eq_u32_e32 vcc, 0, v0
	s_and_b64 exec, exec, vcc
	s_cbranch_execz .LBB36_42
; %bb.41:
	s_add_i32 s0, s6, s12
	v_mov_b32_e32 v0, 0
	v_mov_b32_e32 v1, s0
	global_atomic_smin v0, v1, s[20:21]
.LBB36_42:
	s_endpgm
	.section	.rodata,"a",@progbits
	.p2align	6, 0x0
	.amdhsa_kernel _ZN9rocsparseL24bsrsm_upper_large_kernelILj256ELj16ELb1E21rocsparse_complex_numIfEEEviiPKiS4_PKT2_iPS5_iPiS4_S9_21rocsparse_index_base_20rocsparse_diag_type_20rocsparse_direction_
		.amdhsa_group_segment_fixed_size 0
		.amdhsa_private_segment_fixed_size 0
		.amdhsa_kernarg_size 92
		.amdhsa_user_sgpr_count 6
		.amdhsa_user_sgpr_private_segment_buffer 1
		.amdhsa_user_sgpr_dispatch_ptr 0
		.amdhsa_user_sgpr_queue_ptr 0
		.amdhsa_user_sgpr_kernarg_segment_ptr 1
		.amdhsa_user_sgpr_dispatch_id 0
		.amdhsa_user_sgpr_flat_scratch_init 0
		.amdhsa_user_sgpr_private_segment_size 0
		.amdhsa_uses_dynamic_stack 0
		.amdhsa_system_sgpr_private_segment_wavefront_offset 0
		.amdhsa_system_sgpr_workgroup_id_x 1
		.amdhsa_system_sgpr_workgroup_id_y 0
		.amdhsa_system_sgpr_workgroup_id_z 0
		.amdhsa_system_sgpr_workgroup_info 0
		.amdhsa_system_vgpr_workitem_id 0
		.amdhsa_next_free_vgpr 18
		.amdhsa_next_free_sgpr 42
		.amdhsa_reserve_vcc 1
		.amdhsa_reserve_flat_scratch 0
		.amdhsa_float_round_mode_32 0
		.amdhsa_float_round_mode_16_64 0
		.amdhsa_float_denorm_mode_32 3
		.amdhsa_float_denorm_mode_16_64 3
		.amdhsa_dx10_clamp 1
		.amdhsa_ieee_mode 1
		.amdhsa_fp16_overflow 0
		.amdhsa_exception_fp_ieee_invalid_op 0
		.amdhsa_exception_fp_denorm_src 0
		.amdhsa_exception_fp_ieee_div_zero 0
		.amdhsa_exception_fp_ieee_overflow 0
		.amdhsa_exception_fp_ieee_underflow 0
		.amdhsa_exception_fp_ieee_inexact 0
		.amdhsa_exception_int_div_zero 0
	.end_amdhsa_kernel
	.section	.text._ZN9rocsparseL24bsrsm_upper_large_kernelILj256ELj16ELb1E21rocsparse_complex_numIfEEEviiPKiS4_PKT2_iPS5_iPiS4_S9_21rocsparse_index_base_20rocsparse_diag_type_20rocsparse_direction_,"axG",@progbits,_ZN9rocsparseL24bsrsm_upper_large_kernelILj256ELj16ELb1E21rocsparse_complex_numIfEEEviiPKiS4_PKT2_iPS5_iPiS4_S9_21rocsparse_index_base_20rocsparse_diag_type_20rocsparse_direction_,comdat
.Lfunc_end36:
	.size	_ZN9rocsparseL24bsrsm_upper_large_kernelILj256ELj16ELb1E21rocsparse_complex_numIfEEEviiPKiS4_PKT2_iPS5_iPiS4_S9_21rocsparse_index_base_20rocsparse_diag_type_20rocsparse_direction_, .Lfunc_end36-_ZN9rocsparseL24bsrsm_upper_large_kernelILj256ELj16ELb1E21rocsparse_complex_numIfEEEviiPKiS4_PKT2_iPS5_iPiS4_S9_21rocsparse_index_base_20rocsparse_diag_type_20rocsparse_direction_
                                        ; -- End function
	.set _ZN9rocsparseL24bsrsm_upper_large_kernelILj256ELj16ELb1E21rocsparse_complex_numIfEEEviiPKiS4_PKT2_iPS5_iPiS4_S9_21rocsparse_index_base_20rocsparse_diag_type_20rocsparse_direction_.num_vgpr, 18
	.set _ZN9rocsparseL24bsrsm_upper_large_kernelILj256ELj16ELb1E21rocsparse_complex_numIfEEEviiPKiS4_PKT2_iPS5_iPiS4_S9_21rocsparse_index_base_20rocsparse_diag_type_20rocsparse_direction_.num_agpr, 0
	.set _ZN9rocsparseL24bsrsm_upper_large_kernelILj256ELj16ELb1E21rocsparse_complex_numIfEEEviiPKiS4_PKT2_iPS5_iPiS4_S9_21rocsparse_index_base_20rocsparse_diag_type_20rocsparse_direction_.numbered_sgpr, 42
	.set _ZN9rocsparseL24bsrsm_upper_large_kernelILj256ELj16ELb1E21rocsparse_complex_numIfEEEviiPKiS4_PKT2_iPS5_iPiS4_S9_21rocsparse_index_base_20rocsparse_diag_type_20rocsparse_direction_.num_named_barrier, 0
	.set _ZN9rocsparseL24bsrsm_upper_large_kernelILj256ELj16ELb1E21rocsparse_complex_numIfEEEviiPKiS4_PKT2_iPS5_iPiS4_S9_21rocsparse_index_base_20rocsparse_diag_type_20rocsparse_direction_.private_seg_size, 0
	.set _ZN9rocsparseL24bsrsm_upper_large_kernelILj256ELj16ELb1E21rocsparse_complex_numIfEEEviiPKiS4_PKT2_iPS5_iPiS4_S9_21rocsparse_index_base_20rocsparse_diag_type_20rocsparse_direction_.uses_vcc, 1
	.set _ZN9rocsparseL24bsrsm_upper_large_kernelILj256ELj16ELb1E21rocsparse_complex_numIfEEEviiPKiS4_PKT2_iPS5_iPiS4_S9_21rocsparse_index_base_20rocsparse_diag_type_20rocsparse_direction_.uses_flat_scratch, 0
	.set _ZN9rocsparseL24bsrsm_upper_large_kernelILj256ELj16ELb1E21rocsparse_complex_numIfEEEviiPKiS4_PKT2_iPS5_iPiS4_S9_21rocsparse_index_base_20rocsparse_diag_type_20rocsparse_direction_.has_dyn_sized_stack, 0
	.set _ZN9rocsparseL24bsrsm_upper_large_kernelILj256ELj16ELb1E21rocsparse_complex_numIfEEEviiPKiS4_PKT2_iPS5_iPiS4_S9_21rocsparse_index_base_20rocsparse_diag_type_20rocsparse_direction_.has_recursion, 0
	.set _ZN9rocsparseL24bsrsm_upper_large_kernelILj256ELj16ELb1E21rocsparse_complex_numIfEEEviiPKiS4_PKT2_iPS5_iPiS4_S9_21rocsparse_index_base_20rocsparse_diag_type_20rocsparse_direction_.has_indirect_call, 0
	.section	.AMDGPU.csdata,"",@progbits
; Kernel info:
; codeLenInByte = 1616
; TotalNumSgprs: 46
; NumVgprs: 18
; ScratchSize: 0
; MemoryBound: 0
; FloatMode: 240
; IeeeMode: 1
; LDSByteSize: 0 bytes/workgroup (compile time only)
; SGPRBlocks: 5
; VGPRBlocks: 4
; NumSGPRsForWavesPerEU: 46
; NumVGPRsForWavesPerEU: 18
; Occupancy: 10
; WaveLimiterHint : 1
; COMPUTE_PGM_RSRC2:SCRATCH_EN: 0
; COMPUTE_PGM_RSRC2:USER_SGPR: 6
; COMPUTE_PGM_RSRC2:TRAP_HANDLER: 0
; COMPUTE_PGM_RSRC2:TGID_X_EN: 1
; COMPUTE_PGM_RSRC2:TGID_Y_EN: 0
; COMPUTE_PGM_RSRC2:TGID_Z_EN: 0
; COMPUTE_PGM_RSRC2:TIDIG_COMP_CNT: 0
	.section	.text._ZN9rocsparseL24bsrsm_lower_large_kernelILj256ELj16ELb1E21rocsparse_complex_numIfEEEviiPKiS4_PKT2_iPS5_iPiS4_S9_21rocsparse_index_base_20rocsparse_diag_type_20rocsparse_direction_,"axG",@progbits,_ZN9rocsparseL24bsrsm_lower_large_kernelILj256ELj16ELb1E21rocsparse_complex_numIfEEEviiPKiS4_PKT2_iPS5_iPiS4_S9_21rocsparse_index_base_20rocsparse_diag_type_20rocsparse_direction_,comdat
	.globl	_ZN9rocsparseL24bsrsm_lower_large_kernelILj256ELj16ELb1E21rocsparse_complex_numIfEEEviiPKiS4_PKT2_iPS5_iPiS4_S9_21rocsparse_index_base_20rocsparse_diag_type_20rocsparse_direction_ ; -- Begin function _ZN9rocsparseL24bsrsm_lower_large_kernelILj256ELj16ELb1E21rocsparse_complex_numIfEEEviiPKiS4_PKT2_iPS5_iPiS4_S9_21rocsparse_index_base_20rocsparse_diag_type_20rocsparse_direction_
	.p2align	8
	.type	_ZN9rocsparseL24bsrsm_lower_large_kernelILj256ELj16ELb1E21rocsparse_complex_numIfEEEviiPKiS4_PKT2_iPS5_iPiS4_S9_21rocsparse_index_base_20rocsparse_diag_type_20rocsparse_direction_,@function
_ZN9rocsparseL24bsrsm_lower_large_kernelILj256ELj16ELb1E21rocsparse_complex_numIfEEEviiPKiS4_PKT2_iPS5_iPiS4_S9_21rocsparse_index_base_20rocsparse_diag_type_20rocsparse_direction_: ; @_ZN9rocsparseL24bsrsm_lower_large_kernelILj256ELj16ELb1E21rocsparse_complex_numIfEEEviiPKiS4_PKT2_iPS5_iPiS4_S9_21rocsparse_index_base_20rocsparse_diag_type_20rocsparse_direction_
; %bb.0:
	s_load_dwordx2 s[24:25], s[4:5], 0x0
	s_load_dwordx4 s[16:19], s[4:5], 0x8
	s_load_dwordx4 s[8:11], s[4:5], 0x38
	s_load_dwordx2 s[20:21], s[4:5], 0x48
	v_lshrrev_b32_e32 v6, 4, v0
	v_and_b32_e32 v5, 15, v0
	s_waitcnt lgkmcnt(0)
	v_cvt_f32_u32_e32 v1, s24
	s_sub_i32 s0, 0, s24
	v_rcp_iflag_f32_e32 v1, v1
	v_mul_f32_e32 v1, 0x4f7ffffe, v1
	v_cvt_u32_f32_e32 v1, v1
	v_readfirstlane_b32 s1, v1
	s_mul_i32 s0, s0, s1
	s_mul_hi_u32 s0, s1, s0
	s_add_i32 s1, s1, s0
	s_mul_hi_u32 s0, s6, s1
	s_mul_i32 s1, s0, s24
	s_sub_i32 s1, s6, s1
	s_add_i32 s2, s0, 1
	s_sub_i32 s3, s1, s24
	s_cmp_ge_u32 s1, s24
	s_cselect_b32 s0, s2, s0
	s_cselect_b32 s1, s3, s1
	s_add_i32 s2, s0, 1
	s_cmp_ge_u32 s1, s24
	s_cselect_b32 s26, s2, s0
	s_mul_i32 s33, s26, s24
	s_sub_i32 s0, s6, s33
	s_ashr_i32 s1, s0, 31
	s_lshl_b64 s[0:1], s[0:1], 2
	s_add_u32 s0, s10, s0
	s_addc_u32 s1, s11, s1
	s_load_dword s6, s[0:1], 0x0
	s_load_dwordx2 s[10:11], s[4:5], 0x18
	s_load_dword s34, s[4:5], 0x20
	s_load_dwordx2 s[22:23], s[4:5], 0x28
	s_load_dword s35, s[4:5], 0x30
	s_load_dwordx4 s[12:15], s[4:5], 0x50
	s_waitcnt lgkmcnt(0)
	s_ashr_i32 s7, s6, 31
	s_lshl_b64 s[0:1], s[6:7], 2
	s_add_u32 s0, s16, s0
	s_addc_u32 s1, s17, s1
	s_load_dwordx2 s[2:3], s[0:1], 0x0
	s_lshl_b32 s36, s26, 4
	v_or_b32_e32 v1, s36, v6
	s_mul_i32 s7, s6, s34
	v_cmp_gt_i32_e32 vcc, s25, v1
	s_waitcnt lgkmcnt(0)
	s_sub_i32 s4, s2, s12
	s_cmp_ge_i32 s2, s3
	s_mul_i32 s37, s34, s34
	v_cmp_eq_u32_e64 s[0:1], 0, v0
	s_cbranch_scc1 .LBB37_20
; %bb.1:
	s_mul_i32 s5, s34, s4
	v_add_u32_e32 v2, s5, v5
	v_mul_lo_u32 v7, s34, v2
	s_sub_i32 s15, s3, s12
	v_cmp_gt_i32_e64 s[2:3], s34, v5
	s_cmp_lg_u32 s14, 0
	s_cselect_b64 s[16:17], -1, 0
	s_and_b64 s[2:3], vcc, s[2:3]
	s_mul_i32 s38, s35, s34
	s_lshl_b32 s39, s34, 4
	v_mov_b32_e32 v8, 0
	s_branch .LBB37_3
.LBB37_2:                               ;   in Loop: Header=BB37_3 Depth=1
                                        ; implicit-def: $vgpr7
	s_and_b64 vcc, exec, s[26:27]
	s_cbranch_vccnz .LBB37_21
.LBB37_3:                               ; =>This Loop Header: Depth=1
                                        ;     Child Loop BB37_18 Depth 2
                                        ;       Child Loop BB37_19 Depth 3
                                        ;     Child Loop BB37_9 Depth 2
                                        ;       Child Loop BB37_11 Depth 3
	s_ashr_i32 s5, s4, 31
	s_lshl_b64 s[26:27], s[4:5], 2
	s_add_u32 s26, s18, s26
	s_addc_u32 s27, s19, s27
	global_load_dword v2, v8, s[26:27]
	s_mov_b64 s[26:27], -1
	s_waitcnt vmcnt(0)
	v_readfirstlane_b32 s5, v2
	s_sub_i32 s5, s5, s12
	s_cmp_ge_i32 s5, s6
	s_cbranch_scc1 .LBB37_2
; %bb.4:                                ;   in Loop: Header=BB37_3 Depth=1
	s_and_saveexec_b64 s[26:27], s[0:1]
	s_cbranch_execz .LBB37_6
; %bb.5:                                ;   in Loop: Header=BB37_3 Depth=1
	s_add_i32 s28, s5, s33
	s_ashr_i32 s29, s28, 31
	s_lshl_b64 s[28:29], s[28:29], 2
	s_add_u32 s28, s8, s28
	s_addc_u32 s29, s9, s29
	global_load_dword v2, v8, s[28:29] glc
	s_waitcnt vmcnt(0)
	v_cmp_ne_u32_e32 vcc, 0, v2
	s_cbranch_vccz .LBB37_16
.LBB37_6:                               ;   in Loop: Header=BB37_3 Depth=1
	s_or_b64 exec, exec, s[26:27]
	buffer_wbinvl1_vol
	s_barrier
	s_and_saveexec_b64 s[26:27], s[2:3]
	s_cbranch_execz .LBB37_15
; %bb.7:                                ;   in Loop: Header=BB37_3 Depth=1
	s_mul_i32 s28, s38, s5
	s_mul_i32 s40, s4, s34
	v_add_u32_e32 v9, s28, v1
	s_mov_b64 s[28:29], 0
	v_mov_b32_e32 v10, v7
	v_mov_b32_e32 v11, v5
	s_branch .LBB37_9
.LBB37_8:                               ;   in Loop: Header=BB37_9 Depth=2
	v_add_u32_e32 v2, s7, v11
	v_mad_u64_u32 v[2:3], s[30:31], v2, s35, v[1:2]
	v_mov_b32_e32 v4, s23
	v_add_u32_e32 v11, 16, v11
	v_ashrrev_i32_e32 v3, 31, v2
	v_lshlrev_b64 v[2:3], 3, v[2:3]
	v_add_u32_e32 v10, s39, v10
	v_add_co_u32_e32 v2, vcc, s22, v2
	v_addc_co_u32_e32 v3, vcc, v4, v3, vcc
	global_load_dwordx2 v[14:15], v[2:3], off
	v_cmp_le_i32_e32 vcc, s34, v11
	s_or_b64 s[28:29], vcc, s[28:29]
	s_waitcnt vmcnt(0)
	v_sub_f32_e32 v13, v14, v13
	v_sub_f32_e32 v14, v15, v12
	global_store_dwordx2 v[2:3], v[13:14], off
	s_andn2_b64 exec, exec, s[28:29]
	s_cbranch_execz .LBB37_15
.LBB37_9:                               ;   Parent Loop BB37_3 Depth=1
                                        ; =>  This Loop Header: Depth=2
                                        ;       Child Loop BB37_11 Depth 3
	v_mov_b32_e32 v12, 0
	s_mov_b32 s41, 0
	v_mov_b32_e32 v2, v9
	v_mov_b32_e32 v13, 0
	s_branch .LBB37_11
.LBB37_10:                              ;   in Loop: Header=BB37_11 Depth=3
	v_ashrrev_i32_e32 v4, 31, v3
	v_lshlrev_b64 v[3:4], 3, v[3:4]
	v_mov_b32_e32 v14, s11
	v_add_co_u32_e32 v3, vcc, s10, v3
	v_addc_co_u32_e32 v4, vcc, v14, v4, vcc
	global_load_dwordx2 v[14:15], v[3:4], off
	v_ashrrev_i32_e32 v3, 31, v2
	v_lshlrev_b64 v[3:4], 3, v[2:3]
	v_mov_b32_e32 v16, s23
	v_add_co_u32_e32 v3, vcc, s22, v3
	v_addc_co_u32_e32 v4, vcc, v16, v4, vcc
	global_load_dwordx2 v[3:4], v[3:4], off
	s_add_i32 s41, s41, 1
	s_cmp_eq_u32 s34, s41
	v_add_u32_e32 v2, s35, v2
	s_waitcnt vmcnt(0)
	v_fmac_f32_e32 v13, v14, v3
	v_fmac_f32_e32 v12, v15, v3
	v_fma_f32 v13, -v15, v4, v13
	v_fmac_f32_e32 v12, v14, v4
	s_cbranch_scc1 .LBB37_8
.LBB37_11:                              ;   Parent Loop BB37_3 Depth=1
                                        ;     Parent Loop BB37_9 Depth=2
                                        ; =>    This Inner Loop Header: Depth=3
	s_and_b64 vcc, exec, s[16:17]
	s_cbranch_vccz .LBB37_13
; %bb.12:                               ;   in Loop: Header=BB37_11 Depth=3
	s_add_i32 s30, s41, s40
	s_mul_i32 s30, s30, s34
	v_add_u32_e32 v3, s30, v11
	s_cbranch_execnz .LBB37_10
	s_branch .LBB37_14
.LBB37_13:                              ;   in Loop: Header=BB37_11 Depth=3
                                        ; implicit-def: $vgpr3
.LBB37_14:                              ;   in Loop: Header=BB37_11 Depth=3
	v_add_u32_e32 v3, s41, v10
	s_branch .LBB37_10
.LBB37_15:                              ;   in Loop: Header=BB37_3 Depth=1
	s_or_b64 exec, exec, s[26:27]
	s_add_i32 s4, s4, 1
	s_cmp_ge_i32 s4, s15
	v_add_u32_e32 v7, s37, v7
	s_cselect_b64 s[26:27], -1, 0
	s_and_b64 vcc, exec, s[26:27]
	s_cbranch_vccz .LBB37_3
	s_branch .LBB37_21
.LBB37_16:                              ;   in Loop: Header=BB37_3 Depth=1
	s_mov_b32 s30, 0
	s_branch .LBB37_18
.LBB37_17:                              ;   in Loop: Header=BB37_18 Depth=2
	global_load_dword v2, v8, s[28:29] glc
	s_cmpk_lt_u32 s30, 0xf43
	s_cselect_b64 s[40:41], -1, 0
	s_cmp_lg_u64 s[40:41], 0
	s_addc_u32 s30, s30, 0
	s_waitcnt vmcnt(0)
	v_cmp_ne_u32_e32 vcc, 0, v2
	s_cbranch_vccnz .LBB37_6
.LBB37_18:                              ;   Parent Loop BB37_3 Depth=1
                                        ; =>  This Loop Header: Depth=2
                                        ;       Child Loop BB37_19 Depth 3
	s_cmp_eq_u32 s30, 0
	s_mov_b32 s31, s30
	s_cbranch_scc1 .LBB37_17
.LBB37_19:                              ;   Parent Loop BB37_3 Depth=1
                                        ;     Parent Loop BB37_18 Depth=2
                                        ; =>    This Inner Loop Header: Depth=3
	s_add_i32 s31, s31, -1
	s_cmp_eq_u32 s31, 0
	s_sleep 1
	s_cbranch_scc0 .LBB37_19
	s_branch .LBB37_17
.LBB37_20:
	s_mov_b32 s5, s24
.LBB37_21:
	s_cmp_lt_i32 s6, s24
	s_cselect_b64 s[16:17], -1, 0
	s_cmp_eq_u32 s6, s5
	s_cselect_b64 s[0:1], -1, 0
	v_cmp_gt_i32_e32 vcc, s25, v1
	s_and_b64 s[0:1], vcc, s[0:1]
	s_cmp_gt_i32 s34, 0
	s_cselect_b64 s[2:3], -1, 0
	s_and_b64 s[0:1], s[0:1], s[2:3]
	s_mov_b32 s28, 0
	s_and_b64 s[2:3], s[0:1], s[16:17]
	s_mov_b64 s[0:1], 0
	s_and_saveexec_b64 s[18:19], s[2:3]
	s_cbranch_execz .LBB37_36
; %bb.22:
	v_add_u32_e32 v2, s7, v5
	v_mul_lo_u32 v2, s35, v2
	s_cmp_eq_u32 s13, 0
	s_cselect_b64 s[0:1], -1, 0
	s_cmp_lg_u32 s14, 0
	v_add_u32_e32 v2, s35, v2
	v_add3_u32 v9, v6, v2, s36
	v_cndmask_b32_e64 v2, 0, 1, s[0:1]
	s_cselect_b64 s[14:15], -1, 0
	v_add_u32_e32 v8, 1, v5
	s_mul_i32 s13, s4, s34
	s_lshl_b32 s29, s35, 4
	s_mul_i32 s30, s4, s37
	s_add_i32 s31, s34, 1
	s_mov_b64 s[4:5], 0
	v_cmp_ne_u32_e64 s[0:1], 1, v2
	v_mov_b32_e32 v10, 0
	v_mov_b32_e32 v11, s23
	v_mov_b32_e32 v4, 1.0
	s_and_b64 vcc, exec, s[0:1]
	v_mov_b32_e32 v5, 0
	s_cbranch_vccnz .LBB37_24
.LBB37_23:
	s_add_i32 s2, s28, s13
	s_mul_i32 s2, s2, s34
	s_add_i32 s2, s2, s28
	s_ashr_i32 s3, s2, 31
	s_lshl_b64 s[2:3], s[2:3], 3
	s_add_u32 s2, s10, s2
	s_addc_u32 s3, s11, s3
	global_load_dwordx2 v[4:5], v10, s[2:3]
.LBB37_24:                              ; =>This Loop Header: Depth=1
                                        ;     Child Loop BB37_29 Depth 2
	s_add_i32 s2, s28, s7
	s_mul_i32 s2, s2, s35
	s_waitcnt vmcnt(0)
	v_add_u32_e32 v2, s2, v1
	v_ashrrev_i32_e32 v3, 31, v2
	v_lshlrev_b64 v[2:3], 3, v[2:3]
	s_waitcnt vmcnt(0)
	v_cmp_eq_f32_e64 s[2:3], 0, v5
	v_add_co_u32_e32 v6, vcc, s22, v2
	v_addc_co_u32_e32 v7, vcc, v11, v3, vcc
	global_load_dwordx2 v[2:3], v[6:7], off
	v_cmp_eq_f32_e32 vcc, 0, v4
	s_and_b64 s[24:25], vcc, s[2:3]
	s_mov_b64 s[2:3], -1
	s_and_b64 vcc, exec, s[24:25]
	s_cbranch_vccnz .LBB37_26
; %bb.25:                               ;   in Loop: Header=BB37_24 Depth=1
	v_mul_f32_e32 v12, v5, v5
	v_fmac_f32_e32 v12, v4, v4
	v_div_scale_f32 v13, s[2:3], v12, v12, 1.0
	v_div_scale_f32 v14, vcc, 1.0, v12, 1.0
	s_mov_b64 s[2:3], s[4:5]
	v_rcp_f32_e32 v15, v13
	v_fma_f32 v16, -v13, v15, 1.0
	v_fmac_f32_e32 v15, v16, v15
	v_mul_f32_e32 v16, v14, v15
	v_fma_f32 v17, -v13, v16, v14
	v_fmac_f32_e32 v16, v17, v15
	v_fma_f32 v13, -v13, v16, v14
	v_div_fmas_f32 v13, v13, v15, v16
	s_waitcnt vmcnt(0)
	v_mul_f32_e32 v14, v5, v3
	v_mul_f32_e64 v5, v5, -v2
	v_fmac_f32_e32 v14, v2, v4
	v_fmac_f32_e32 v5, v3, v4
	v_div_fixup_f32 v3, v13, v12, 1.0
	v_mul_f32_e32 v2, v3, v14
	v_mul_f32_e32 v3, v3, v5
	global_store_dwordx2 v[6:7], v[2:3], off
.LBB37_26:                              ;   in Loop: Header=BB37_24 Depth=1
	v_add_u32_e32 v7, s28, v8
	v_cmp_gt_i32_e32 vcc, s34, v7
	s_and_saveexec_b64 s[4:5], vcc
	s_cbranch_execz .LBB37_33
; %bb.27:                               ;   in Loop: Header=BB37_24 Depth=1
	s_mov_b64 s[24:25], 0
	v_mov_b32_e32 v4, v9
	v_mov_b32_e32 v12, v8
	s_branch .LBB37_29
.LBB37_28:                              ;   in Loop: Header=BB37_29 Depth=2
	v_ashrrev_i32_e32 v6, 31, v5
	v_lshlrev_b64 v[5:6], 3, v[5:6]
	v_mov_b32_e32 v13, s11
	v_add_co_u32_e32 v5, vcc, s10, v5
	v_addc_co_u32_e32 v6, vcc, v13, v6, vcc
	global_load_dwordx2 v[13:14], v[5:6], off
	v_ashrrev_i32_e32 v5, 31, v4
	v_lshlrev_b64 v[5:6], 3, v[4:5]
	v_mov_b32_e32 v15, s23
	v_add_co_u32_e32 v5, vcc, s22, v5
	v_addc_co_u32_e32 v6, vcc, v15, v6, vcc
	global_load_dwordx2 v[15:16], v[5:6], off
	v_add_u32_e32 v12, 16, v12
	v_add_u32_e32 v17, s28, v12
	v_cmp_le_i32_e32 vcc, s34, v17
	v_add_u32_e32 v7, 16, v7
	s_or_b64 s[24:25], vcc, s[24:25]
	v_add_u32_e32 v4, s29, v4
	s_waitcnt vmcnt(1)
	v_mul_f32_e64 v17, v14, -v3
	v_mul_f32_e32 v14, v2, v14
	v_fmac_f32_e32 v17, v2, v13
	v_fmac_f32_e32 v14, v3, v13
	s_waitcnt vmcnt(0)
	v_sub_f32_e32 v13, v15, v17
	v_sub_f32_e32 v14, v16, v14
	global_store_dwordx2 v[5:6], v[13:14], off
	s_andn2_b64 exec, exec, s[24:25]
	s_cbranch_execz .LBB37_33
.LBB37_29:                              ;   Parent Loop BB37_24 Depth=1
                                        ; =>  This Inner Loop Header: Depth=2
	s_and_b64 vcc, exec, s[14:15]
	s_cbranch_vccz .LBB37_31
; %bb.30:                               ;   in Loop: Header=BB37_29 Depth=2
	v_add_u32_e32 v5, s30, v12
	s_cbranch_execnz .LBB37_28
	s_branch .LBB37_32
.LBB37_31:                              ;   in Loop: Header=BB37_29 Depth=2
                                        ; implicit-def: $vgpr5
.LBB37_32:                              ;   in Loop: Header=BB37_29 Depth=2
	v_add_u32_e32 v5, s13, v7
	v_mul_lo_u32 v5, v5, s34
	v_add_u32_e32 v5, s28, v5
	s_branch .LBB37_28
.LBB37_33:                              ;   in Loop: Header=BB37_24 Depth=1
	s_or_b64 exec, exec, s[4:5]
	s_add_i32 s28, s28, 1
	s_add_i32 s30, s30, s31
	s_cmp_eq_u32 s28, s34
	v_add_u32_e32 v9, s35, v9
	s_cbranch_scc1 .LBB37_35
; %bb.34:                               ;   in Loop: Header=BB37_24 Depth=1
	s_mov_b64 s[4:5], s[2:3]
	v_mov_b32_e32 v4, 1.0
	s_and_b64 vcc, exec, s[0:1]
	v_mov_b32_e32 v5, 0
	s_cbranch_vccnz .LBB37_24
	s_branch .LBB37_23
.LBB37_35:
	s_and_b64 s[0:1], s[2:3], exec
.LBB37_36:
	s_or_b64 exec, exec, s[18:19]
	v_cmp_eq_u32_e32 vcc, 0, v0
	s_and_b64 s[2:3], vcc, s[16:17]
	s_waitcnt vmcnt(0)
	buffer_wbinvl1_vol
	s_barrier
	s_and_saveexec_b64 s[4:5], s[2:3]
	s_cbranch_execz .LBB37_40
; %bb.37:
	s_add_i32 s2, s6, s33
	s_ashr_i32 s3, s2, 31
	s_lshl_b64 s[2:3], s[2:3], 2
	s_add_u32 s2, s8, s2
	s_addc_u32 s3, s9, s3
	v_mov_b32_e32 v0, 0
	v_mov_b32_e32 v1, 1
	global_store_dword v0, v1, s[2:3]
	s_and_b64 exec, exec, s[0:1]
	s_cbranch_execz .LBB37_40
; %bb.38:
	v_mbcnt_lo_u32_b32 v0, exec_lo, 0
	v_mbcnt_hi_u32_b32 v0, exec_hi, v0
	v_cmp_eq_u32_e32 vcc, 0, v0
	s_and_b64 exec, exec, vcc
	s_cbranch_execz .LBB37_40
; %bb.39:
	s_add_i32 s0, s6, s12
	v_mov_b32_e32 v0, 0
	v_mov_b32_e32 v1, s0
	global_atomic_smin v0, v1, s[20:21]
.LBB37_40:
	s_endpgm
	.section	.rodata,"a",@progbits
	.p2align	6, 0x0
	.amdhsa_kernel _ZN9rocsparseL24bsrsm_lower_large_kernelILj256ELj16ELb1E21rocsparse_complex_numIfEEEviiPKiS4_PKT2_iPS5_iPiS4_S9_21rocsparse_index_base_20rocsparse_diag_type_20rocsparse_direction_
		.amdhsa_group_segment_fixed_size 0
		.amdhsa_private_segment_fixed_size 0
		.amdhsa_kernarg_size 92
		.amdhsa_user_sgpr_count 6
		.amdhsa_user_sgpr_private_segment_buffer 1
		.amdhsa_user_sgpr_dispatch_ptr 0
		.amdhsa_user_sgpr_queue_ptr 0
		.amdhsa_user_sgpr_kernarg_segment_ptr 1
		.amdhsa_user_sgpr_dispatch_id 0
		.amdhsa_user_sgpr_flat_scratch_init 0
		.amdhsa_user_sgpr_private_segment_size 0
		.amdhsa_uses_dynamic_stack 0
		.amdhsa_system_sgpr_private_segment_wavefront_offset 0
		.amdhsa_system_sgpr_workgroup_id_x 1
		.amdhsa_system_sgpr_workgroup_id_y 0
		.amdhsa_system_sgpr_workgroup_id_z 0
		.amdhsa_system_sgpr_workgroup_info 0
		.amdhsa_system_vgpr_workitem_id 0
		.amdhsa_next_free_vgpr 18
		.amdhsa_next_free_sgpr 42
		.amdhsa_reserve_vcc 1
		.amdhsa_reserve_flat_scratch 0
		.amdhsa_float_round_mode_32 0
		.amdhsa_float_round_mode_16_64 0
		.amdhsa_float_denorm_mode_32 3
		.amdhsa_float_denorm_mode_16_64 3
		.amdhsa_dx10_clamp 1
		.amdhsa_ieee_mode 1
		.amdhsa_fp16_overflow 0
		.amdhsa_exception_fp_ieee_invalid_op 0
		.amdhsa_exception_fp_denorm_src 0
		.amdhsa_exception_fp_ieee_div_zero 0
		.amdhsa_exception_fp_ieee_overflow 0
		.amdhsa_exception_fp_ieee_underflow 0
		.amdhsa_exception_fp_ieee_inexact 0
		.amdhsa_exception_int_div_zero 0
	.end_amdhsa_kernel
	.section	.text._ZN9rocsparseL24bsrsm_lower_large_kernelILj256ELj16ELb1E21rocsparse_complex_numIfEEEviiPKiS4_PKT2_iPS5_iPiS4_S9_21rocsparse_index_base_20rocsparse_diag_type_20rocsparse_direction_,"axG",@progbits,_ZN9rocsparseL24bsrsm_lower_large_kernelILj256ELj16ELb1E21rocsparse_complex_numIfEEEviiPKiS4_PKT2_iPS5_iPiS4_S9_21rocsparse_index_base_20rocsparse_diag_type_20rocsparse_direction_,comdat
.Lfunc_end37:
	.size	_ZN9rocsparseL24bsrsm_lower_large_kernelILj256ELj16ELb1E21rocsparse_complex_numIfEEEviiPKiS4_PKT2_iPS5_iPiS4_S9_21rocsparse_index_base_20rocsparse_diag_type_20rocsparse_direction_, .Lfunc_end37-_ZN9rocsparseL24bsrsm_lower_large_kernelILj256ELj16ELb1E21rocsparse_complex_numIfEEEviiPKiS4_PKT2_iPS5_iPiS4_S9_21rocsparse_index_base_20rocsparse_diag_type_20rocsparse_direction_
                                        ; -- End function
	.set _ZN9rocsparseL24bsrsm_lower_large_kernelILj256ELj16ELb1E21rocsparse_complex_numIfEEEviiPKiS4_PKT2_iPS5_iPiS4_S9_21rocsparse_index_base_20rocsparse_diag_type_20rocsparse_direction_.num_vgpr, 18
	.set _ZN9rocsparseL24bsrsm_lower_large_kernelILj256ELj16ELb1E21rocsparse_complex_numIfEEEviiPKiS4_PKT2_iPS5_iPiS4_S9_21rocsparse_index_base_20rocsparse_diag_type_20rocsparse_direction_.num_agpr, 0
	.set _ZN9rocsparseL24bsrsm_lower_large_kernelILj256ELj16ELb1E21rocsparse_complex_numIfEEEviiPKiS4_PKT2_iPS5_iPiS4_S9_21rocsparse_index_base_20rocsparse_diag_type_20rocsparse_direction_.numbered_sgpr, 42
	.set _ZN9rocsparseL24bsrsm_lower_large_kernelILj256ELj16ELb1E21rocsparse_complex_numIfEEEviiPKiS4_PKT2_iPS5_iPiS4_S9_21rocsparse_index_base_20rocsparse_diag_type_20rocsparse_direction_.num_named_barrier, 0
	.set _ZN9rocsparseL24bsrsm_lower_large_kernelILj256ELj16ELb1E21rocsparse_complex_numIfEEEviiPKiS4_PKT2_iPS5_iPiS4_S9_21rocsparse_index_base_20rocsparse_diag_type_20rocsparse_direction_.private_seg_size, 0
	.set _ZN9rocsparseL24bsrsm_lower_large_kernelILj256ELj16ELb1E21rocsparse_complex_numIfEEEviiPKiS4_PKT2_iPS5_iPiS4_S9_21rocsparse_index_base_20rocsparse_diag_type_20rocsparse_direction_.uses_vcc, 1
	.set _ZN9rocsparseL24bsrsm_lower_large_kernelILj256ELj16ELb1E21rocsparse_complex_numIfEEEviiPKiS4_PKT2_iPS5_iPiS4_S9_21rocsparse_index_base_20rocsparse_diag_type_20rocsparse_direction_.uses_flat_scratch, 0
	.set _ZN9rocsparseL24bsrsm_lower_large_kernelILj256ELj16ELb1E21rocsparse_complex_numIfEEEviiPKiS4_PKT2_iPS5_iPiS4_S9_21rocsparse_index_base_20rocsparse_diag_type_20rocsparse_direction_.has_dyn_sized_stack, 0
	.set _ZN9rocsparseL24bsrsm_lower_large_kernelILj256ELj16ELb1E21rocsparse_complex_numIfEEEviiPKiS4_PKT2_iPS5_iPiS4_S9_21rocsparse_index_base_20rocsparse_diag_type_20rocsparse_direction_.has_recursion, 0
	.set _ZN9rocsparseL24bsrsm_lower_large_kernelILj256ELj16ELb1E21rocsparse_complex_numIfEEEviiPKiS4_PKT2_iPS5_iPiS4_S9_21rocsparse_index_base_20rocsparse_diag_type_20rocsparse_direction_.has_indirect_call, 0
	.section	.AMDGPU.csdata,"",@progbits
; Kernel info:
; codeLenInByte = 1636
; TotalNumSgprs: 46
; NumVgprs: 18
; ScratchSize: 0
; MemoryBound: 0
; FloatMode: 240
; IeeeMode: 1
; LDSByteSize: 0 bytes/workgroup (compile time only)
; SGPRBlocks: 5
; VGPRBlocks: 4
; NumSGPRsForWavesPerEU: 46
; NumVGPRsForWavesPerEU: 18
; Occupancy: 10
; WaveLimiterHint : 1
; COMPUTE_PGM_RSRC2:SCRATCH_EN: 0
; COMPUTE_PGM_RSRC2:USER_SGPR: 6
; COMPUTE_PGM_RSRC2:TRAP_HANDLER: 0
; COMPUTE_PGM_RSRC2:TGID_X_EN: 1
; COMPUTE_PGM_RSRC2:TGID_Y_EN: 0
; COMPUTE_PGM_RSRC2:TGID_Z_EN: 0
; COMPUTE_PGM_RSRC2:TIDIG_COMP_CNT: 0
	.section	.text._ZN9rocsparseL24bsrsm_upper_large_kernelILj64ELj16ELb0E21rocsparse_complex_numIfEEEviiPKiS4_PKT2_iPS5_iPiS4_S9_21rocsparse_index_base_20rocsparse_diag_type_20rocsparse_direction_,"axG",@progbits,_ZN9rocsparseL24bsrsm_upper_large_kernelILj64ELj16ELb0E21rocsparse_complex_numIfEEEviiPKiS4_PKT2_iPS5_iPiS4_S9_21rocsparse_index_base_20rocsparse_diag_type_20rocsparse_direction_,comdat
	.globl	_ZN9rocsparseL24bsrsm_upper_large_kernelILj64ELj16ELb0E21rocsparse_complex_numIfEEEviiPKiS4_PKT2_iPS5_iPiS4_S9_21rocsparse_index_base_20rocsparse_diag_type_20rocsparse_direction_ ; -- Begin function _ZN9rocsparseL24bsrsm_upper_large_kernelILj64ELj16ELb0E21rocsparse_complex_numIfEEEviiPKiS4_PKT2_iPS5_iPiS4_S9_21rocsparse_index_base_20rocsparse_diag_type_20rocsparse_direction_
	.p2align	8
	.type	_ZN9rocsparseL24bsrsm_upper_large_kernelILj64ELj16ELb0E21rocsparse_complex_numIfEEEviiPKiS4_PKT2_iPS5_iPiS4_S9_21rocsparse_index_base_20rocsparse_diag_type_20rocsparse_direction_,@function
_ZN9rocsparseL24bsrsm_upper_large_kernelILj64ELj16ELb0E21rocsparse_complex_numIfEEEviiPKiS4_PKT2_iPS5_iPiS4_S9_21rocsparse_index_base_20rocsparse_diag_type_20rocsparse_direction_: ; @_ZN9rocsparseL24bsrsm_upper_large_kernelILj64ELj16ELb0E21rocsparse_complex_numIfEEEviiPKiS4_PKT2_iPS5_iPiS4_S9_21rocsparse_index_base_20rocsparse_diag_type_20rocsparse_direction_
; %bb.0:
	s_load_dwordx2 s[24:25], s[4:5], 0x0
	s_load_dwordx4 s[16:19], s[4:5], 0x8
	s_load_dwordx4 s[8:11], s[4:5], 0x38
	s_load_dwordx2 s[20:21], s[4:5], 0x48
	v_lshrrev_b32_e32 v5, 2, v0
	v_and_b32_e32 v8, 3, v0
	s_waitcnt lgkmcnt(0)
	v_cvt_f32_u32_e32 v1, s24
	s_sub_i32 s0, 0, s24
	v_rcp_iflag_f32_e32 v1, v1
	v_mul_f32_e32 v1, 0x4f7ffffe, v1
	v_cvt_u32_f32_e32 v1, v1
	v_readfirstlane_b32 s1, v1
	s_mul_i32 s0, s0, s1
	s_mul_hi_u32 s0, s1, s0
	s_add_i32 s1, s1, s0
	s_mul_hi_u32 s0, s6, s1
	s_mul_i32 s1, s0, s24
	s_sub_i32 s1, s6, s1
	s_add_i32 s2, s0, 1
	s_sub_i32 s3, s1, s24
	s_cmp_ge_u32 s1, s24
	s_cselect_b32 s0, s2, s0
	s_cselect_b32 s1, s3, s1
	s_add_i32 s2, s0, 1
	s_cmp_ge_u32 s1, s24
	s_cselect_b32 s26, s2, s0
	s_mul_i32 s33, s26, s24
	s_sub_i32 s0, s6, s33
	s_ashr_i32 s1, s0, 31
	s_lshl_b64 s[0:1], s[0:1], 2
	s_add_u32 s0, s10, s0
	s_addc_u32 s1, s11, s1
	s_load_dword s6, s[0:1], 0x0
	s_load_dwordx2 s[10:11], s[4:5], 0x18
	s_load_dword s34, s[4:5], 0x20
	s_load_dwordx2 s[22:23], s[4:5], 0x28
	s_load_dword s35, s[4:5], 0x30
	s_load_dwordx4 s[12:15], s[4:5], 0x50
	s_waitcnt lgkmcnt(0)
	s_ashr_i32 s7, s6, 31
	s_lshl_b64 s[0:1], s[6:7], 2
	s_add_u32 s0, s16, s0
	s_addc_u32 s1, s17, s1
	s_load_dwordx2 s[2:3], s[0:1], 0x0
	s_lshl_b32 s36, s26, 4
	s_not_b32 s0, s12
	v_or_b32_e32 v1, s36, v5
	v_cmp_gt_i32_e32 vcc, s25, v1
	s_waitcnt lgkmcnt(0)
	s_sub_i32 s15, s2, s12
	s_add_i32 s4, s3, s0
	s_cmp_lt_i32 s4, s15
	s_mul_i32 s7, s6, s34
	v_cmp_eq_u32_e64 s[0:1], 0, v0
	s_cbranch_scc1 .LBB38_17
; %bb.1:
	s_mul_i32 s5, s34, s4
	v_add_u32_e32 v2, s5, v8
	v_mul_lo_u32 v6, s34, v2
	v_cmp_gt_i32_e64 s[2:3], s34, v8
	s_cmp_lg_u32 s14, 0
	s_cselect_b64 s[16:17], -1, 0
	s_and_b64 s[2:3], vcc, s[2:3]
	s_mul_i32 s37, s35, s34
	s_mul_i32 s38, s34, s34
	s_lshl_b32 s39, s34, 2
	v_mov_b32_e32 v7, 0
	s_branch .LBB38_3
.LBB38_2:                               ;   in Loop: Header=BB38_3 Depth=1
                                        ; implicit-def: $vgpr6
	s_and_b64 vcc, exec, s[26:27]
	s_cbranch_vccnz .LBB38_18
.LBB38_3:                               ; =>This Loop Header: Depth=1
                                        ;     Child Loop BB38_6 Depth 2
                                        ;     Child Loop BB38_10 Depth 2
                                        ;       Child Loop BB38_12 Depth 3
	s_ashr_i32 s5, s4, 31
	s_lshl_b64 s[26:27], s[4:5], 2
	s_add_u32 s26, s18, s26
	s_addc_u32 s27, s19, s27
	global_load_dword v2, v7, s[26:27]
	s_mov_b64 s[26:27], -1
	s_waitcnt vmcnt(0)
	v_readfirstlane_b32 s5, v2
	s_sub_i32 s5, s5, s12
	s_cmp_le_i32 s5, s6
	s_cbranch_scc1 .LBB38_2
; %bb.4:                                ;   in Loop: Header=BB38_3 Depth=1
	s_and_saveexec_b64 s[26:27], s[0:1]
	s_cbranch_execz .LBB38_7
; %bb.5:                                ;   in Loop: Header=BB38_3 Depth=1
	s_add_i32 s28, s5, s33
	s_ashr_i32 s29, s28, 31
	s_lshl_b64 s[28:29], s[28:29], 2
	s_add_u32 s28, s8, s28
	s_addc_u32 s29, s9, s29
	global_load_dword v2, v7, s[28:29] glc
	s_waitcnt vmcnt(0)
	v_cmp_ne_u32_e32 vcc, 0, v2
	s_cbranch_vccnz .LBB38_7
.LBB38_6:                               ;   Parent Loop BB38_3 Depth=1
                                        ; =>  This Inner Loop Header: Depth=2
	global_load_dword v2, v7, s[28:29] glc
	s_waitcnt vmcnt(0)
	v_cmp_eq_u32_e32 vcc, 0, v2
	s_cbranch_vccnz .LBB38_6
.LBB38_7:                               ;   in Loop: Header=BB38_3 Depth=1
	s_or_b64 exec, exec, s[26:27]
	buffer_wbinvl1_vol
	; wave barrier
	s_and_saveexec_b64 s[26:27], s[2:3]
	s_cbranch_execz .LBB38_16
; %bb.8:                                ;   in Loop: Header=BB38_3 Depth=1
	s_mul_i32 s28, s37, s5
	s_mul_i32 s40, s4, s34
	v_add_u32_e32 v9, s28, v1
	s_mov_b64 s[28:29], 0
	v_mov_b32_e32 v10, v6
	v_mov_b32_e32 v11, v8
	s_branch .LBB38_10
.LBB38_9:                               ;   in Loop: Header=BB38_10 Depth=2
	v_add_u32_e32 v2, s7, v11
	v_mad_u64_u32 v[2:3], s[30:31], v2, s35, v[1:2]
	v_mov_b32_e32 v4, s23
	v_add_u32_e32 v11, 4, v11
	v_ashrrev_i32_e32 v3, 31, v2
	v_lshlrev_b64 v[2:3], 3, v[2:3]
	v_add_u32_e32 v10, s39, v10
	v_add_co_u32_e32 v2, vcc, s22, v2
	v_addc_co_u32_e32 v3, vcc, v4, v3, vcc
	global_load_dwordx2 v[14:15], v[2:3], off
	v_cmp_le_i32_e32 vcc, s34, v11
	s_or_b64 s[28:29], vcc, s[28:29]
	s_waitcnt vmcnt(0)
	v_sub_f32_e32 v13, v14, v13
	v_sub_f32_e32 v14, v15, v12
	global_store_dwordx2 v[2:3], v[13:14], off
	s_andn2_b64 exec, exec, s[28:29]
	s_cbranch_execz .LBB38_16
.LBB38_10:                              ;   Parent Loop BB38_3 Depth=1
                                        ; =>  This Loop Header: Depth=2
                                        ;       Child Loop BB38_12 Depth 3
	v_mov_b32_e32 v12, 0
	s_mov_b32 s41, 0
	v_mov_b32_e32 v2, v9
	v_mov_b32_e32 v13, 0
	s_branch .LBB38_12
.LBB38_11:                              ;   in Loop: Header=BB38_12 Depth=3
	v_ashrrev_i32_e32 v4, 31, v3
	v_lshlrev_b64 v[3:4], 3, v[3:4]
	v_mov_b32_e32 v14, s11
	v_add_co_u32_e32 v3, vcc, s10, v3
	v_addc_co_u32_e32 v4, vcc, v14, v4, vcc
	global_load_dwordx2 v[14:15], v[3:4], off
	v_ashrrev_i32_e32 v3, 31, v2
	v_lshlrev_b64 v[3:4], 3, v[2:3]
	v_mov_b32_e32 v16, s23
	v_add_co_u32_e32 v3, vcc, s22, v3
	v_addc_co_u32_e32 v4, vcc, v16, v4, vcc
	global_load_dwordx2 v[3:4], v[3:4], off
	s_add_i32 s41, s41, 1
	s_cmp_eq_u32 s34, s41
	v_add_u32_e32 v2, s35, v2
	s_waitcnt vmcnt(0)
	v_fmac_f32_e32 v13, v14, v3
	v_fmac_f32_e32 v12, v15, v3
	v_fma_f32 v13, -v15, v4, v13
	v_fmac_f32_e32 v12, v14, v4
	s_cbranch_scc1 .LBB38_9
.LBB38_12:                              ;   Parent Loop BB38_3 Depth=1
                                        ;     Parent Loop BB38_10 Depth=2
                                        ; =>    This Inner Loop Header: Depth=3
	s_and_b64 vcc, exec, s[16:17]
	s_cbranch_vccz .LBB38_14
; %bb.13:                               ;   in Loop: Header=BB38_12 Depth=3
	s_add_i32 s30, s41, s40
	s_mul_i32 s30, s30, s34
	v_add_u32_e32 v3, s30, v11
	s_cbranch_execnz .LBB38_11
	s_branch .LBB38_15
.LBB38_14:                              ;   in Loop: Header=BB38_12 Depth=3
                                        ; implicit-def: $vgpr3
.LBB38_15:                              ;   in Loop: Header=BB38_12 Depth=3
	v_add_u32_e32 v3, s41, v10
	s_branch .LBB38_11
.LBB38_16:                              ;   in Loop: Header=BB38_3 Depth=1
	s_or_b64 exec, exec, s[26:27]
	s_add_i32 s28, s4, -1
	s_cmp_le_i32 s4, s15
	v_subrev_u32_e32 v6, s38, v6
	s_cselect_b64 s[26:27], -1, 0
	s_mov_b32 s4, s28
	s_and_b64 vcc, exec, s[26:27]
	s_cbranch_vccz .LBB38_3
	s_branch .LBB38_18
.LBB38_17:
	s_mov_b32 s5, s24
.LBB38_18:
	s_cmp_lt_i32 s6, s24
	s_cselect_b64 s[16:17], -1, 0
	s_cmp_eq_u32 s6, s5
	s_cselect_b64 s[0:1], -1, 0
	v_cmp_gt_i32_e32 vcc, s25, v1
	s_and_b64 s[0:1], vcc, s[0:1]
	s_cmp_gt_i32 s34, 0
	s_cselect_b64 s[2:3], -1, 0
	s_and_b64 s[0:1], s[0:1], s[2:3]
	s_and_b64 s[2:3], s[0:1], s[16:17]
	s_mov_b64 s[0:1], 0
	s_and_saveexec_b64 s[18:19], s[2:3]
	s_cbranch_execz .LBB38_35
; %bb.19:
	v_add_u32_e32 v2, s7, v8
	s_cmp_eq_u32 s13, 0
	v_mul_lo_u32 v2, s35, v2
	s_cselect_b64 s[0:1], -1, 0
	s_cmp_lg_u32 s14, 0
	s_cselect_b64 s[14:15], -1, 0
	s_add_i32 s2, s4, 1
	s_mul_i32 s2, s34, s2
	v_add3_u32 v9, v5, v2, s36
	s_add_i32 s2, s2, -1
	v_cndmask_b32_e64 v2, 0, 1, s[0:1]
	s_mul_i32 s13, s4, s34
	s_lshl_b32 s28, s35, 2
	s_mul_i32 s29, s34, s2
	s_mov_b64 s[4:5], 0
	v_cmp_ne_u32_e64 s[0:1], 1, v2
	v_mov_b32_e32 v10, 0
	v_mov_b32_e32 v11, s23
	s_mov_b32 s30, s34
.LBB38_20:                              ; =>This Loop Header: Depth=1
                                        ;     Child Loop BB38_27 Depth 2
	s_add_i32 s31, s30, -1
	v_mov_b32_e32 v4, 1.0
	s_and_b64 vcc, exec, s[0:1]
	v_mov_b32_e32 v5, 0
	s_cbranch_vccnz .LBB38_22
; %bb.21:                               ;   in Loop: Header=BB38_20 Depth=1
	s_add_i32 s2, s31, s13
	s_mul_i32 s2, s2, s34
	s_add_i32 s2, s2, s31
	s_ashr_i32 s3, s2, 31
	s_lshl_b64 s[2:3], s[2:3], 3
	s_add_u32 s2, s10, s2
	s_addc_u32 s3, s11, s3
	global_load_dwordx2 v[4:5], v10, s[2:3]
.LBB38_22:                              ;   in Loop: Header=BB38_20 Depth=1
	s_add_i32 s2, s31, s7
	s_mul_i32 s2, s2, s35
	s_waitcnt vmcnt(0)
	v_add_u32_e32 v2, s2, v1
	v_ashrrev_i32_e32 v3, 31, v2
	v_lshlrev_b64 v[2:3], 3, v[2:3]
	s_waitcnt vmcnt(0)
	v_cmp_eq_f32_e64 s[2:3], 0, v5
	v_add_co_u32_e32 v6, vcc, s22, v2
	v_addc_co_u32_e32 v7, vcc, v11, v3, vcc
	global_load_dwordx2 v[2:3], v[6:7], off
	v_cmp_eq_f32_e32 vcc, 0, v4
	s_and_b64 s[24:25], vcc, s[2:3]
	s_mov_b64 s[2:3], -1
	s_and_b64 vcc, exec, s[24:25]
	s_cbranch_vccnz .LBB38_24
; %bb.23:                               ;   in Loop: Header=BB38_20 Depth=1
	v_mul_f32_e32 v12, v5, v5
	v_fmac_f32_e32 v12, v4, v4
	v_div_scale_f32 v13, s[2:3], v12, v12, 1.0
	v_div_scale_f32 v14, vcc, 1.0, v12, 1.0
	s_mov_b64 s[2:3], s[4:5]
	v_rcp_f32_e32 v15, v13
	v_fma_f32 v16, -v13, v15, 1.0
	v_fmac_f32_e32 v15, v16, v15
	v_mul_f32_e32 v16, v14, v15
	v_fma_f32 v17, -v13, v16, v14
	v_fmac_f32_e32 v16, v17, v15
	v_fma_f32 v13, -v13, v16, v14
	v_div_fmas_f32 v13, v13, v15, v16
	s_waitcnt vmcnt(0)
	v_mul_f32_e32 v14, v5, v3
	v_mul_f32_e64 v5, v5, -v2
	v_fmac_f32_e32 v14, v2, v4
	v_fmac_f32_e32 v5, v3, v4
	v_div_fixup_f32 v3, v13, v12, 1.0
	v_mul_f32_e32 v2, v3, v14
	v_mul_f32_e32 v3, v3, v5
	global_store_dwordx2 v[6:7], v[2:3], off
.LBB38_24:                              ;   in Loop: Header=BB38_20 Depth=1
	v_cmp_gt_i32_e32 vcc, s31, v8
	s_and_saveexec_b64 s[4:5], vcc
	s_cbranch_execz .LBB38_31
; %bb.25:                               ;   in Loop: Header=BB38_20 Depth=1
	s_mov_b64 s[24:25], 0
	v_mov_b32_e32 v4, v9
	v_mov_b32_e32 v7, v8
	s_branch .LBB38_27
.LBB38_26:                              ;   in Loop: Header=BB38_27 Depth=2
	v_ashrrev_i32_e32 v6, 31, v5
	v_lshlrev_b64 v[5:6], 3, v[5:6]
	v_mov_b32_e32 v12, s11
	v_add_co_u32_e32 v5, vcc, s10, v5
	v_addc_co_u32_e32 v6, vcc, v12, v6, vcc
	global_load_dwordx2 v[12:13], v[5:6], off
	v_ashrrev_i32_e32 v5, 31, v4
	v_lshlrev_b64 v[5:6], 3, v[4:5]
	v_mov_b32_e32 v14, s23
	v_add_co_u32_e32 v5, vcc, s22, v5
	v_addc_co_u32_e32 v6, vcc, v14, v6, vcc
	global_load_dwordx2 v[14:15], v[5:6], off
	v_add_u32_e32 v7, 4, v7
	v_cmp_le_i32_e32 vcc, s31, v7
	s_or_b64 s[24:25], vcc, s[24:25]
	v_add_u32_e32 v4, s28, v4
	s_waitcnt vmcnt(1)
	v_mul_f32_e64 v16, v13, -v3
	v_mul_f32_e32 v13, v2, v13
	v_fmac_f32_e32 v16, v2, v12
	v_fmac_f32_e32 v13, v3, v12
	s_waitcnt vmcnt(0)
	v_sub_f32_e32 v12, v14, v16
	v_sub_f32_e32 v13, v15, v13
	global_store_dwordx2 v[5:6], v[12:13], off
	s_andn2_b64 exec, exec, s[24:25]
	s_cbranch_execz .LBB38_31
.LBB38_27:                              ;   Parent Loop BB38_20 Depth=1
                                        ; =>  This Inner Loop Header: Depth=2
	s_and_b64 vcc, exec, s[14:15]
	s_cbranch_vccz .LBB38_29
; %bb.28:                               ;   in Loop: Header=BB38_27 Depth=2
	v_add_u32_e32 v5, s29, v7
	s_cbranch_execnz .LBB38_26
	s_branch .LBB38_30
.LBB38_29:                              ;   in Loop: Header=BB38_27 Depth=2
                                        ; implicit-def: $vgpr5
.LBB38_30:                              ;   in Loop: Header=BB38_27 Depth=2
	v_add_u32_e32 v5, s13, v7
	v_mul_lo_u32 v5, v5, s34
	v_add_u32_e32 v5, s31, v5
	s_branch .LBB38_26
.LBB38_31:                              ;   in Loop: Header=BB38_20 Depth=1
	s_or_b64 exec, exec, s[4:5]
; %bb.32:                               ;   in Loop: Header=BB38_20 Depth=1
	s_sub_i32 s29, s29, s34
	s_cmp_lt_i32 s30, 2
	s_cbranch_scc1 .LBB38_34
; %bb.33:                               ;   in Loop: Header=BB38_20 Depth=1
	s_mov_b32 s30, s31
	s_mov_b64 s[4:5], s[2:3]
	s_branch .LBB38_20
.LBB38_34:
	s_and_b64 s[0:1], s[2:3], exec
.LBB38_35:
	s_or_b64 exec, exec, s[18:19]
	v_cmp_eq_u32_e32 vcc, 0, v0
	s_and_b64 s[2:3], vcc, s[16:17]
	s_waitcnt vmcnt(0)
	buffer_wbinvl1_vol
	; wave barrier
	s_and_saveexec_b64 s[4:5], s[2:3]
	s_cbranch_execz .LBB38_39
; %bb.36:
	s_add_i32 s2, s6, s33
	s_ashr_i32 s3, s2, 31
	s_lshl_b64 s[2:3], s[2:3], 2
	s_add_u32 s2, s8, s2
	s_addc_u32 s3, s9, s3
	v_mov_b32_e32 v0, 0
	v_mov_b32_e32 v1, 1
	global_store_dword v0, v1, s[2:3]
	s_and_b64 exec, exec, s[0:1]
	s_cbranch_execz .LBB38_39
; %bb.37:
	v_mbcnt_lo_u32_b32 v0, exec_lo, 0
	v_mbcnt_hi_u32_b32 v0, exec_hi, v0
	v_cmp_eq_u32_e32 vcc, 0, v0
	s_and_b64 exec, exec, vcc
	s_cbranch_execz .LBB38_39
; %bb.38:
	s_add_i32 s0, s6, s12
	v_mov_b32_e32 v0, 0
	v_mov_b32_e32 v1, s0
	global_atomic_smin v0, v1, s[20:21]
.LBB38_39:
	s_endpgm
	.section	.rodata,"a",@progbits
	.p2align	6, 0x0
	.amdhsa_kernel _ZN9rocsparseL24bsrsm_upper_large_kernelILj64ELj16ELb0E21rocsparse_complex_numIfEEEviiPKiS4_PKT2_iPS5_iPiS4_S9_21rocsparse_index_base_20rocsparse_diag_type_20rocsparse_direction_
		.amdhsa_group_segment_fixed_size 0
		.amdhsa_private_segment_fixed_size 0
		.amdhsa_kernarg_size 92
		.amdhsa_user_sgpr_count 6
		.amdhsa_user_sgpr_private_segment_buffer 1
		.amdhsa_user_sgpr_dispatch_ptr 0
		.amdhsa_user_sgpr_queue_ptr 0
		.amdhsa_user_sgpr_kernarg_segment_ptr 1
		.amdhsa_user_sgpr_dispatch_id 0
		.amdhsa_user_sgpr_flat_scratch_init 0
		.amdhsa_user_sgpr_private_segment_size 0
		.amdhsa_uses_dynamic_stack 0
		.amdhsa_system_sgpr_private_segment_wavefront_offset 0
		.amdhsa_system_sgpr_workgroup_id_x 1
		.amdhsa_system_sgpr_workgroup_id_y 0
		.amdhsa_system_sgpr_workgroup_id_z 0
		.amdhsa_system_sgpr_workgroup_info 0
		.amdhsa_system_vgpr_workitem_id 0
		.amdhsa_next_free_vgpr 18
		.amdhsa_next_free_sgpr 42
		.amdhsa_reserve_vcc 1
		.amdhsa_reserve_flat_scratch 0
		.amdhsa_float_round_mode_32 0
		.amdhsa_float_round_mode_16_64 0
		.amdhsa_float_denorm_mode_32 3
		.amdhsa_float_denorm_mode_16_64 3
		.amdhsa_dx10_clamp 1
		.amdhsa_ieee_mode 1
		.amdhsa_fp16_overflow 0
		.amdhsa_exception_fp_ieee_invalid_op 0
		.amdhsa_exception_fp_denorm_src 0
		.amdhsa_exception_fp_ieee_div_zero 0
		.amdhsa_exception_fp_ieee_overflow 0
		.amdhsa_exception_fp_ieee_underflow 0
		.amdhsa_exception_fp_ieee_inexact 0
		.amdhsa_exception_int_div_zero 0
	.end_amdhsa_kernel
	.section	.text._ZN9rocsparseL24bsrsm_upper_large_kernelILj64ELj16ELb0E21rocsparse_complex_numIfEEEviiPKiS4_PKT2_iPS5_iPiS4_S9_21rocsparse_index_base_20rocsparse_diag_type_20rocsparse_direction_,"axG",@progbits,_ZN9rocsparseL24bsrsm_upper_large_kernelILj64ELj16ELb0E21rocsparse_complex_numIfEEEviiPKiS4_PKT2_iPS5_iPiS4_S9_21rocsparse_index_base_20rocsparse_diag_type_20rocsparse_direction_,comdat
.Lfunc_end38:
	.size	_ZN9rocsparseL24bsrsm_upper_large_kernelILj64ELj16ELb0E21rocsparse_complex_numIfEEEviiPKiS4_PKT2_iPS5_iPiS4_S9_21rocsparse_index_base_20rocsparse_diag_type_20rocsparse_direction_, .Lfunc_end38-_ZN9rocsparseL24bsrsm_upper_large_kernelILj64ELj16ELb0E21rocsparse_complex_numIfEEEviiPKiS4_PKT2_iPS5_iPiS4_S9_21rocsparse_index_base_20rocsparse_diag_type_20rocsparse_direction_
                                        ; -- End function
	.set _ZN9rocsparseL24bsrsm_upper_large_kernelILj64ELj16ELb0E21rocsparse_complex_numIfEEEviiPKiS4_PKT2_iPS5_iPiS4_S9_21rocsparse_index_base_20rocsparse_diag_type_20rocsparse_direction_.num_vgpr, 18
	.set _ZN9rocsparseL24bsrsm_upper_large_kernelILj64ELj16ELb0E21rocsparse_complex_numIfEEEviiPKiS4_PKT2_iPS5_iPiS4_S9_21rocsparse_index_base_20rocsparse_diag_type_20rocsparse_direction_.num_agpr, 0
	.set _ZN9rocsparseL24bsrsm_upper_large_kernelILj64ELj16ELb0E21rocsparse_complex_numIfEEEviiPKiS4_PKT2_iPS5_iPiS4_S9_21rocsparse_index_base_20rocsparse_diag_type_20rocsparse_direction_.numbered_sgpr, 42
	.set _ZN9rocsparseL24bsrsm_upper_large_kernelILj64ELj16ELb0E21rocsparse_complex_numIfEEEviiPKiS4_PKT2_iPS5_iPiS4_S9_21rocsparse_index_base_20rocsparse_diag_type_20rocsparse_direction_.num_named_barrier, 0
	.set _ZN9rocsparseL24bsrsm_upper_large_kernelILj64ELj16ELb0E21rocsparse_complex_numIfEEEviiPKiS4_PKT2_iPS5_iPiS4_S9_21rocsparse_index_base_20rocsparse_diag_type_20rocsparse_direction_.private_seg_size, 0
	.set _ZN9rocsparseL24bsrsm_upper_large_kernelILj64ELj16ELb0E21rocsparse_complex_numIfEEEviiPKiS4_PKT2_iPS5_iPiS4_S9_21rocsparse_index_base_20rocsparse_diag_type_20rocsparse_direction_.uses_vcc, 1
	.set _ZN9rocsparseL24bsrsm_upper_large_kernelILj64ELj16ELb0E21rocsparse_complex_numIfEEEviiPKiS4_PKT2_iPS5_iPiS4_S9_21rocsparse_index_base_20rocsparse_diag_type_20rocsparse_direction_.uses_flat_scratch, 0
	.set _ZN9rocsparseL24bsrsm_upper_large_kernelILj64ELj16ELb0E21rocsparse_complex_numIfEEEviiPKiS4_PKT2_iPS5_iPiS4_S9_21rocsparse_index_base_20rocsparse_diag_type_20rocsparse_direction_.has_dyn_sized_stack, 0
	.set _ZN9rocsparseL24bsrsm_upper_large_kernelILj64ELj16ELb0E21rocsparse_complex_numIfEEEviiPKiS4_PKT2_iPS5_iPiS4_S9_21rocsparse_index_base_20rocsparse_diag_type_20rocsparse_direction_.has_recursion, 0
	.set _ZN9rocsparseL24bsrsm_upper_large_kernelILj64ELj16ELb0E21rocsparse_complex_numIfEEEviiPKiS4_PKT2_iPS5_iPiS4_S9_21rocsparse_index_base_20rocsparse_diag_type_20rocsparse_direction_.has_indirect_call, 0
	.section	.AMDGPU.csdata,"",@progbits
; Kernel info:
; codeLenInByte = 1552
; TotalNumSgprs: 46
; NumVgprs: 18
; ScratchSize: 0
; MemoryBound: 0
; FloatMode: 240
; IeeeMode: 1
; LDSByteSize: 0 bytes/workgroup (compile time only)
; SGPRBlocks: 5
; VGPRBlocks: 4
; NumSGPRsForWavesPerEU: 46
; NumVGPRsForWavesPerEU: 18
; Occupancy: 10
; WaveLimiterHint : 1
; COMPUTE_PGM_RSRC2:SCRATCH_EN: 0
; COMPUTE_PGM_RSRC2:USER_SGPR: 6
; COMPUTE_PGM_RSRC2:TRAP_HANDLER: 0
; COMPUTE_PGM_RSRC2:TGID_X_EN: 1
; COMPUTE_PGM_RSRC2:TGID_Y_EN: 0
; COMPUTE_PGM_RSRC2:TGID_Z_EN: 0
; COMPUTE_PGM_RSRC2:TIDIG_COMP_CNT: 0
	.section	.text._ZN9rocsparseL24bsrsm_lower_large_kernelILj64ELj16ELb0E21rocsparse_complex_numIfEEEviiPKiS4_PKT2_iPS5_iPiS4_S9_21rocsparse_index_base_20rocsparse_diag_type_20rocsparse_direction_,"axG",@progbits,_ZN9rocsparseL24bsrsm_lower_large_kernelILj64ELj16ELb0E21rocsparse_complex_numIfEEEviiPKiS4_PKT2_iPS5_iPiS4_S9_21rocsparse_index_base_20rocsparse_diag_type_20rocsparse_direction_,comdat
	.globl	_ZN9rocsparseL24bsrsm_lower_large_kernelILj64ELj16ELb0E21rocsparse_complex_numIfEEEviiPKiS4_PKT2_iPS5_iPiS4_S9_21rocsparse_index_base_20rocsparse_diag_type_20rocsparse_direction_ ; -- Begin function _ZN9rocsparseL24bsrsm_lower_large_kernelILj64ELj16ELb0E21rocsparse_complex_numIfEEEviiPKiS4_PKT2_iPS5_iPiS4_S9_21rocsparse_index_base_20rocsparse_diag_type_20rocsparse_direction_
	.p2align	8
	.type	_ZN9rocsparseL24bsrsm_lower_large_kernelILj64ELj16ELb0E21rocsparse_complex_numIfEEEviiPKiS4_PKT2_iPS5_iPiS4_S9_21rocsparse_index_base_20rocsparse_diag_type_20rocsparse_direction_,@function
_ZN9rocsparseL24bsrsm_lower_large_kernelILj64ELj16ELb0E21rocsparse_complex_numIfEEEviiPKiS4_PKT2_iPS5_iPiS4_S9_21rocsparse_index_base_20rocsparse_diag_type_20rocsparse_direction_: ; @_ZN9rocsparseL24bsrsm_lower_large_kernelILj64ELj16ELb0E21rocsparse_complex_numIfEEEviiPKiS4_PKT2_iPS5_iPiS4_S9_21rocsparse_index_base_20rocsparse_diag_type_20rocsparse_direction_
; %bb.0:
	s_load_dwordx2 s[24:25], s[4:5], 0x0
	s_load_dwordx4 s[16:19], s[4:5], 0x8
	s_load_dwordx4 s[8:11], s[4:5], 0x38
	s_load_dwordx2 s[20:21], s[4:5], 0x48
	v_lshrrev_b32_e32 v6, 2, v0
	v_and_b32_e32 v5, 3, v0
	s_waitcnt lgkmcnt(0)
	v_cvt_f32_u32_e32 v1, s24
	s_sub_i32 s0, 0, s24
	v_rcp_iflag_f32_e32 v1, v1
	v_mul_f32_e32 v1, 0x4f7ffffe, v1
	v_cvt_u32_f32_e32 v1, v1
	v_readfirstlane_b32 s1, v1
	s_mul_i32 s0, s0, s1
	s_mul_hi_u32 s0, s1, s0
	s_add_i32 s1, s1, s0
	s_mul_hi_u32 s0, s6, s1
	s_mul_i32 s1, s0, s24
	s_sub_i32 s1, s6, s1
	s_add_i32 s2, s0, 1
	s_sub_i32 s3, s1, s24
	s_cmp_ge_u32 s1, s24
	s_cselect_b32 s0, s2, s0
	s_cselect_b32 s1, s3, s1
	s_add_i32 s2, s0, 1
	s_cmp_ge_u32 s1, s24
	s_cselect_b32 s26, s2, s0
	s_mul_i32 s33, s26, s24
	s_sub_i32 s0, s6, s33
	s_ashr_i32 s1, s0, 31
	s_lshl_b64 s[0:1], s[0:1], 2
	s_add_u32 s0, s10, s0
	s_addc_u32 s1, s11, s1
	s_load_dword s6, s[0:1], 0x0
	s_load_dwordx2 s[10:11], s[4:5], 0x18
	s_load_dword s34, s[4:5], 0x20
	s_load_dwordx2 s[22:23], s[4:5], 0x28
	s_load_dword s35, s[4:5], 0x30
	s_load_dwordx4 s[12:15], s[4:5], 0x50
	s_waitcnt lgkmcnt(0)
	s_ashr_i32 s7, s6, 31
	s_lshl_b64 s[0:1], s[6:7], 2
	s_add_u32 s0, s16, s0
	s_addc_u32 s1, s17, s1
	s_load_dwordx2 s[2:3], s[0:1], 0x0
	s_lshl_b32 s36, s26, 4
	v_or_b32_e32 v1, s36, v6
	s_mul_i32 s7, s6, s34
	v_cmp_gt_i32_e32 vcc, s25, v1
	s_waitcnt lgkmcnt(0)
	s_sub_i32 s4, s2, s12
	s_cmp_ge_i32 s2, s3
	s_mul_i32 s37, s34, s34
	v_cmp_eq_u32_e64 s[0:1], 0, v0
	s_cbranch_scc1 .LBB39_17
; %bb.1:
	s_mul_i32 s5, s34, s4
	v_add_u32_e32 v2, s5, v5
	v_mul_lo_u32 v7, s34, v2
	s_sub_i32 s15, s3, s12
	v_cmp_gt_i32_e64 s[2:3], s34, v5
	s_cmp_lg_u32 s14, 0
	s_cselect_b64 s[16:17], -1, 0
	s_and_b64 s[2:3], vcc, s[2:3]
	s_mul_i32 s38, s35, s34
	s_lshl_b32 s39, s34, 2
	v_mov_b32_e32 v8, 0
	s_branch .LBB39_3
.LBB39_2:                               ;   in Loop: Header=BB39_3 Depth=1
                                        ; implicit-def: $vgpr7
	s_and_b64 vcc, exec, s[26:27]
	s_cbranch_vccnz .LBB39_18
.LBB39_3:                               ; =>This Loop Header: Depth=1
                                        ;     Child Loop BB39_6 Depth 2
                                        ;     Child Loop BB39_10 Depth 2
                                        ;       Child Loop BB39_12 Depth 3
	s_ashr_i32 s5, s4, 31
	s_lshl_b64 s[26:27], s[4:5], 2
	s_add_u32 s26, s18, s26
	s_addc_u32 s27, s19, s27
	global_load_dword v2, v8, s[26:27]
	s_mov_b64 s[26:27], -1
	s_waitcnt vmcnt(0)
	v_readfirstlane_b32 s5, v2
	s_sub_i32 s5, s5, s12
	s_cmp_ge_i32 s5, s6
	s_cbranch_scc1 .LBB39_2
; %bb.4:                                ;   in Loop: Header=BB39_3 Depth=1
	s_and_saveexec_b64 s[26:27], s[0:1]
	s_cbranch_execz .LBB39_7
; %bb.5:                                ;   in Loop: Header=BB39_3 Depth=1
	s_add_i32 s28, s5, s33
	s_ashr_i32 s29, s28, 31
	s_lshl_b64 s[28:29], s[28:29], 2
	s_add_u32 s28, s8, s28
	s_addc_u32 s29, s9, s29
	global_load_dword v2, v8, s[28:29] glc
	s_waitcnt vmcnt(0)
	v_cmp_ne_u32_e32 vcc, 0, v2
	s_cbranch_vccnz .LBB39_7
.LBB39_6:                               ;   Parent Loop BB39_3 Depth=1
                                        ; =>  This Inner Loop Header: Depth=2
	global_load_dword v2, v8, s[28:29] glc
	s_waitcnt vmcnt(0)
	v_cmp_eq_u32_e32 vcc, 0, v2
	s_cbranch_vccnz .LBB39_6
.LBB39_7:                               ;   in Loop: Header=BB39_3 Depth=1
	s_or_b64 exec, exec, s[26:27]
	buffer_wbinvl1_vol
	; wave barrier
	s_and_saveexec_b64 s[26:27], s[2:3]
	s_cbranch_execz .LBB39_16
; %bb.8:                                ;   in Loop: Header=BB39_3 Depth=1
	s_mul_i32 s28, s38, s5
	s_mul_i32 s40, s4, s34
	v_add_u32_e32 v9, s28, v1
	s_mov_b64 s[28:29], 0
	v_mov_b32_e32 v10, v7
	v_mov_b32_e32 v11, v5
	s_branch .LBB39_10
.LBB39_9:                               ;   in Loop: Header=BB39_10 Depth=2
	v_add_u32_e32 v2, s7, v11
	v_mad_u64_u32 v[2:3], s[30:31], v2, s35, v[1:2]
	v_mov_b32_e32 v4, s23
	v_add_u32_e32 v11, 4, v11
	v_ashrrev_i32_e32 v3, 31, v2
	v_lshlrev_b64 v[2:3], 3, v[2:3]
	v_add_u32_e32 v10, s39, v10
	v_add_co_u32_e32 v2, vcc, s22, v2
	v_addc_co_u32_e32 v3, vcc, v4, v3, vcc
	global_load_dwordx2 v[14:15], v[2:3], off
	v_cmp_le_i32_e32 vcc, s34, v11
	s_or_b64 s[28:29], vcc, s[28:29]
	s_waitcnt vmcnt(0)
	v_sub_f32_e32 v13, v14, v13
	v_sub_f32_e32 v14, v15, v12
	global_store_dwordx2 v[2:3], v[13:14], off
	s_andn2_b64 exec, exec, s[28:29]
	s_cbranch_execz .LBB39_16
.LBB39_10:                              ;   Parent Loop BB39_3 Depth=1
                                        ; =>  This Loop Header: Depth=2
                                        ;       Child Loop BB39_12 Depth 3
	v_mov_b32_e32 v12, 0
	s_mov_b32 s41, 0
	v_mov_b32_e32 v2, v9
	v_mov_b32_e32 v13, 0
	s_branch .LBB39_12
.LBB39_11:                              ;   in Loop: Header=BB39_12 Depth=3
	v_ashrrev_i32_e32 v4, 31, v3
	v_lshlrev_b64 v[3:4], 3, v[3:4]
	v_mov_b32_e32 v14, s11
	v_add_co_u32_e32 v3, vcc, s10, v3
	v_addc_co_u32_e32 v4, vcc, v14, v4, vcc
	global_load_dwordx2 v[14:15], v[3:4], off
	v_ashrrev_i32_e32 v3, 31, v2
	v_lshlrev_b64 v[3:4], 3, v[2:3]
	v_mov_b32_e32 v16, s23
	v_add_co_u32_e32 v3, vcc, s22, v3
	v_addc_co_u32_e32 v4, vcc, v16, v4, vcc
	global_load_dwordx2 v[3:4], v[3:4], off
	s_add_i32 s41, s41, 1
	s_cmp_eq_u32 s34, s41
	v_add_u32_e32 v2, s35, v2
	s_waitcnt vmcnt(0)
	v_fmac_f32_e32 v13, v14, v3
	v_fmac_f32_e32 v12, v15, v3
	v_fma_f32 v13, -v15, v4, v13
	v_fmac_f32_e32 v12, v14, v4
	s_cbranch_scc1 .LBB39_9
.LBB39_12:                              ;   Parent Loop BB39_3 Depth=1
                                        ;     Parent Loop BB39_10 Depth=2
                                        ; =>    This Inner Loop Header: Depth=3
	s_and_b64 vcc, exec, s[16:17]
	s_cbranch_vccz .LBB39_14
; %bb.13:                               ;   in Loop: Header=BB39_12 Depth=3
	s_add_i32 s30, s41, s40
	s_mul_i32 s30, s30, s34
	v_add_u32_e32 v3, s30, v11
	s_cbranch_execnz .LBB39_11
	s_branch .LBB39_15
.LBB39_14:                              ;   in Loop: Header=BB39_12 Depth=3
                                        ; implicit-def: $vgpr3
.LBB39_15:                              ;   in Loop: Header=BB39_12 Depth=3
	v_add_u32_e32 v3, s41, v10
	s_branch .LBB39_11
.LBB39_16:                              ;   in Loop: Header=BB39_3 Depth=1
	s_or_b64 exec, exec, s[26:27]
	s_add_i32 s4, s4, 1
	s_cmp_ge_i32 s4, s15
	v_add_u32_e32 v7, s37, v7
	s_cselect_b64 s[26:27], -1, 0
	s_and_b64 vcc, exec, s[26:27]
	s_cbranch_vccz .LBB39_3
	s_branch .LBB39_18
.LBB39_17:
	s_mov_b32 s5, s24
.LBB39_18:
	s_cmp_lt_i32 s6, s24
	s_cselect_b64 s[16:17], -1, 0
	s_cmp_eq_u32 s6, s5
	s_cselect_b64 s[0:1], -1, 0
	v_cmp_gt_i32_e32 vcc, s25, v1
	s_and_b64 s[0:1], vcc, s[0:1]
	s_cmp_gt_i32 s34, 0
	s_cselect_b64 s[2:3], -1, 0
	s_and_b64 s[0:1], s[0:1], s[2:3]
	s_mov_b32 s28, 0
	s_and_b64 s[2:3], s[0:1], s[16:17]
	s_mov_b64 s[0:1], 0
	s_and_saveexec_b64 s[18:19], s[2:3]
	s_cbranch_execz .LBB39_33
; %bb.19:
	v_add_u32_e32 v2, s7, v5
	v_mul_lo_u32 v2, s35, v2
	s_cmp_eq_u32 s13, 0
	s_cselect_b64 s[0:1], -1, 0
	s_cmp_lg_u32 s14, 0
	v_add_u32_e32 v2, s35, v2
	v_add3_u32 v9, v6, v2, s36
	v_cndmask_b32_e64 v2, 0, 1, s[0:1]
	s_cselect_b64 s[14:15], -1, 0
	v_add_u32_e32 v8, 1, v5
	s_mul_i32 s13, s4, s34
	s_lshl_b32 s29, s35, 2
	s_mul_i32 s30, s4, s37
	s_add_i32 s31, s34, 1
	s_mov_b64 s[4:5], 0
	v_cmp_ne_u32_e64 s[0:1], 1, v2
	v_mov_b32_e32 v10, 0
	v_mov_b32_e32 v11, s23
	v_mov_b32_e32 v4, 1.0
	s_and_b64 vcc, exec, s[0:1]
	v_mov_b32_e32 v5, 0
	s_cbranch_vccnz .LBB39_21
.LBB39_20:
	s_add_i32 s2, s28, s13
	s_mul_i32 s2, s2, s34
	s_add_i32 s2, s2, s28
	s_ashr_i32 s3, s2, 31
	s_lshl_b64 s[2:3], s[2:3], 3
	s_add_u32 s2, s10, s2
	s_addc_u32 s3, s11, s3
	global_load_dwordx2 v[4:5], v10, s[2:3]
.LBB39_21:                              ; =>This Loop Header: Depth=1
                                        ;     Child Loop BB39_26 Depth 2
	s_add_i32 s2, s28, s7
	s_mul_i32 s2, s2, s35
	s_waitcnt vmcnt(0)
	v_add_u32_e32 v2, s2, v1
	v_ashrrev_i32_e32 v3, 31, v2
	v_lshlrev_b64 v[2:3], 3, v[2:3]
	s_waitcnt vmcnt(0)
	v_cmp_eq_f32_e64 s[2:3], 0, v5
	v_add_co_u32_e32 v6, vcc, s22, v2
	v_addc_co_u32_e32 v7, vcc, v11, v3, vcc
	global_load_dwordx2 v[2:3], v[6:7], off
	v_cmp_eq_f32_e32 vcc, 0, v4
	s_and_b64 s[24:25], vcc, s[2:3]
	s_mov_b64 s[2:3], -1
	s_and_b64 vcc, exec, s[24:25]
	s_cbranch_vccnz .LBB39_23
; %bb.22:                               ;   in Loop: Header=BB39_21 Depth=1
	v_mul_f32_e32 v12, v5, v5
	v_fmac_f32_e32 v12, v4, v4
	v_div_scale_f32 v13, s[2:3], v12, v12, 1.0
	v_div_scale_f32 v14, vcc, 1.0, v12, 1.0
	s_mov_b64 s[2:3], s[4:5]
	v_rcp_f32_e32 v15, v13
	v_fma_f32 v16, -v13, v15, 1.0
	v_fmac_f32_e32 v15, v16, v15
	v_mul_f32_e32 v16, v14, v15
	v_fma_f32 v17, -v13, v16, v14
	v_fmac_f32_e32 v16, v17, v15
	v_fma_f32 v13, -v13, v16, v14
	v_div_fmas_f32 v13, v13, v15, v16
	s_waitcnt vmcnt(0)
	v_mul_f32_e32 v14, v5, v3
	v_mul_f32_e64 v5, v5, -v2
	v_fmac_f32_e32 v14, v2, v4
	v_fmac_f32_e32 v5, v3, v4
	v_div_fixup_f32 v3, v13, v12, 1.0
	v_mul_f32_e32 v2, v3, v14
	v_mul_f32_e32 v3, v3, v5
	global_store_dwordx2 v[6:7], v[2:3], off
.LBB39_23:                              ;   in Loop: Header=BB39_21 Depth=1
	v_add_u32_e32 v7, s28, v8
	v_cmp_gt_i32_e32 vcc, s34, v7
	s_and_saveexec_b64 s[4:5], vcc
	s_cbranch_execz .LBB39_30
; %bb.24:                               ;   in Loop: Header=BB39_21 Depth=1
	s_mov_b64 s[24:25], 0
	v_mov_b32_e32 v4, v9
	v_mov_b32_e32 v12, v8
	s_branch .LBB39_26
.LBB39_25:                              ;   in Loop: Header=BB39_26 Depth=2
	v_ashrrev_i32_e32 v6, 31, v5
	v_lshlrev_b64 v[5:6], 3, v[5:6]
	v_mov_b32_e32 v13, s11
	v_add_co_u32_e32 v5, vcc, s10, v5
	v_addc_co_u32_e32 v6, vcc, v13, v6, vcc
	global_load_dwordx2 v[13:14], v[5:6], off
	v_ashrrev_i32_e32 v5, 31, v4
	v_lshlrev_b64 v[5:6], 3, v[4:5]
	v_mov_b32_e32 v15, s23
	v_add_co_u32_e32 v5, vcc, s22, v5
	v_addc_co_u32_e32 v6, vcc, v15, v6, vcc
	global_load_dwordx2 v[15:16], v[5:6], off
	v_add_u32_e32 v12, 4, v12
	v_add_u32_e32 v17, s28, v12
	v_cmp_le_i32_e32 vcc, s34, v17
	v_add_u32_e32 v7, 4, v7
	s_or_b64 s[24:25], vcc, s[24:25]
	v_add_u32_e32 v4, s29, v4
	s_waitcnt vmcnt(1)
	v_mul_f32_e64 v17, v14, -v3
	v_mul_f32_e32 v14, v2, v14
	v_fmac_f32_e32 v17, v2, v13
	v_fmac_f32_e32 v14, v3, v13
	s_waitcnt vmcnt(0)
	v_sub_f32_e32 v13, v15, v17
	v_sub_f32_e32 v14, v16, v14
	global_store_dwordx2 v[5:6], v[13:14], off
	s_andn2_b64 exec, exec, s[24:25]
	s_cbranch_execz .LBB39_30
.LBB39_26:                              ;   Parent Loop BB39_21 Depth=1
                                        ; =>  This Inner Loop Header: Depth=2
	s_and_b64 vcc, exec, s[14:15]
	s_cbranch_vccz .LBB39_28
; %bb.27:                               ;   in Loop: Header=BB39_26 Depth=2
	v_add_u32_e32 v5, s30, v12
	s_cbranch_execnz .LBB39_25
	s_branch .LBB39_29
.LBB39_28:                              ;   in Loop: Header=BB39_26 Depth=2
                                        ; implicit-def: $vgpr5
.LBB39_29:                              ;   in Loop: Header=BB39_26 Depth=2
	v_add_u32_e32 v5, s13, v7
	v_mul_lo_u32 v5, v5, s34
	v_add_u32_e32 v5, s28, v5
	s_branch .LBB39_25
.LBB39_30:                              ;   in Loop: Header=BB39_21 Depth=1
	s_or_b64 exec, exec, s[4:5]
	s_add_i32 s28, s28, 1
	s_add_i32 s30, s30, s31
	s_cmp_eq_u32 s28, s34
	v_add_u32_e32 v9, s35, v9
	s_cbranch_scc1 .LBB39_32
; %bb.31:                               ;   in Loop: Header=BB39_21 Depth=1
	s_mov_b64 s[4:5], s[2:3]
	v_mov_b32_e32 v4, 1.0
	s_and_b64 vcc, exec, s[0:1]
	v_mov_b32_e32 v5, 0
	s_cbranch_vccnz .LBB39_21
	s_branch .LBB39_20
.LBB39_32:
	s_and_b64 s[0:1], s[2:3], exec
.LBB39_33:
	s_or_b64 exec, exec, s[18:19]
	v_cmp_eq_u32_e32 vcc, 0, v0
	s_and_b64 s[2:3], vcc, s[16:17]
	s_waitcnt vmcnt(0)
	buffer_wbinvl1_vol
	; wave barrier
	s_and_saveexec_b64 s[4:5], s[2:3]
	s_cbranch_execz .LBB39_37
; %bb.34:
	s_add_i32 s2, s6, s33
	s_ashr_i32 s3, s2, 31
	s_lshl_b64 s[2:3], s[2:3], 2
	s_add_u32 s2, s8, s2
	s_addc_u32 s3, s9, s3
	v_mov_b32_e32 v0, 0
	v_mov_b32_e32 v1, 1
	global_store_dword v0, v1, s[2:3]
	s_and_b64 exec, exec, s[0:1]
	s_cbranch_execz .LBB39_37
; %bb.35:
	v_mbcnt_lo_u32_b32 v0, exec_lo, 0
	v_mbcnt_hi_u32_b32 v0, exec_hi, v0
	v_cmp_eq_u32_e32 vcc, 0, v0
	s_and_b64 exec, exec, vcc
	s_cbranch_execz .LBB39_37
; %bb.36:
	s_add_i32 s0, s6, s12
	v_mov_b32_e32 v0, 0
	v_mov_b32_e32 v1, s0
	global_atomic_smin v0, v1, s[20:21]
.LBB39_37:
	s_endpgm
	.section	.rodata,"a",@progbits
	.p2align	6, 0x0
	.amdhsa_kernel _ZN9rocsparseL24bsrsm_lower_large_kernelILj64ELj16ELb0E21rocsparse_complex_numIfEEEviiPKiS4_PKT2_iPS5_iPiS4_S9_21rocsparse_index_base_20rocsparse_diag_type_20rocsparse_direction_
		.amdhsa_group_segment_fixed_size 0
		.amdhsa_private_segment_fixed_size 0
		.amdhsa_kernarg_size 92
		.amdhsa_user_sgpr_count 6
		.amdhsa_user_sgpr_private_segment_buffer 1
		.amdhsa_user_sgpr_dispatch_ptr 0
		.amdhsa_user_sgpr_queue_ptr 0
		.amdhsa_user_sgpr_kernarg_segment_ptr 1
		.amdhsa_user_sgpr_dispatch_id 0
		.amdhsa_user_sgpr_flat_scratch_init 0
		.amdhsa_user_sgpr_private_segment_size 0
		.amdhsa_uses_dynamic_stack 0
		.amdhsa_system_sgpr_private_segment_wavefront_offset 0
		.amdhsa_system_sgpr_workgroup_id_x 1
		.amdhsa_system_sgpr_workgroup_id_y 0
		.amdhsa_system_sgpr_workgroup_id_z 0
		.amdhsa_system_sgpr_workgroup_info 0
		.amdhsa_system_vgpr_workitem_id 0
		.amdhsa_next_free_vgpr 18
		.amdhsa_next_free_sgpr 42
		.amdhsa_reserve_vcc 1
		.amdhsa_reserve_flat_scratch 0
		.amdhsa_float_round_mode_32 0
		.amdhsa_float_round_mode_16_64 0
		.amdhsa_float_denorm_mode_32 3
		.amdhsa_float_denorm_mode_16_64 3
		.amdhsa_dx10_clamp 1
		.amdhsa_ieee_mode 1
		.amdhsa_fp16_overflow 0
		.amdhsa_exception_fp_ieee_invalid_op 0
		.amdhsa_exception_fp_denorm_src 0
		.amdhsa_exception_fp_ieee_div_zero 0
		.amdhsa_exception_fp_ieee_overflow 0
		.amdhsa_exception_fp_ieee_underflow 0
		.amdhsa_exception_fp_ieee_inexact 0
		.amdhsa_exception_int_div_zero 0
	.end_amdhsa_kernel
	.section	.text._ZN9rocsparseL24bsrsm_lower_large_kernelILj64ELj16ELb0E21rocsparse_complex_numIfEEEviiPKiS4_PKT2_iPS5_iPiS4_S9_21rocsparse_index_base_20rocsparse_diag_type_20rocsparse_direction_,"axG",@progbits,_ZN9rocsparseL24bsrsm_lower_large_kernelILj64ELj16ELb0E21rocsparse_complex_numIfEEEviiPKiS4_PKT2_iPS5_iPiS4_S9_21rocsparse_index_base_20rocsparse_diag_type_20rocsparse_direction_,comdat
.Lfunc_end39:
	.size	_ZN9rocsparseL24bsrsm_lower_large_kernelILj64ELj16ELb0E21rocsparse_complex_numIfEEEviiPKiS4_PKT2_iPS5_iPiS4_S9_21rocsparse_index_base_20rocsparse_diag_type_20rocsparse_direction_, .Lfunc_end39-_ZN9rocsparseL24bsrsm_lower_large_kernelILj64ELj16ELb0E21rocsparse_complex_numIfEEEviiPKiS4_PKT2_iPS5_iPiS4_S9_21rocsparse_index_base_20rocsparse_diag_type_20rocsparse_direction_
                                        ; -- End function
	.set _ZN9rocsparseL24bsrsm_lower_large_kernelILj64ELj16ELb0E21rocsparse_complex_numIfEEEviiPKiS4_PKT2_iPS5_iPiS4_S9_21rocsparse_index_base_20rocsparse_diag_type_20rocsparse_direction_.num_vgpr, 18
	.set _ZN9rocsparseL24bsrsm_lower_large_kernelILj64ELj16ELb0E21rocsparse_complex_numIfEEEviiPKiS4_PKT2_iPS5_iPiS4_S9_21rocsparse_index_base_20rocsparse_diag_type_20rocsparse_direction_.num_agpr, 0
	.set _ZN9rocsparseL24bsrsm_lower_large_kernelILj64ELj16ELb0E21rocsparse_complex_numIfEEEviiPKiS4_PKT2_iPS5_iPiS4_S9_21rocsparse_index_base_20rocsparse_diag_type_20rocsparse_direction_.numbered_sgpr, 42
	.set _ZN9rocsparseL24bsrsm_lower_large_kernelILj64ELj16ELb0E21rocsparse_complex_numIfEEEviiPKiS4_PKT2_iPS5_iPiS4_S9_21rocsparse_index_base_20rocsparse_diag_type_20rocsparse_direction_.num_named_barrier, 0
	.set _ZN9rocsparseL24bsrsm_lower_large_kernelILj64ELj16ELb0E21rocsparse_complex_numIfEEEviiPKiS4_PKT2_iPS5_iPiS4_S9_21rocsparse_index_base_20rocsparse_diag_type_20rocsparse_direction_.private_seg_size, 0
	.set _ZN9rocsparseL24bsrsm_lower_large_kernelILj64ELj16ELb0E21rocsparse_complex_numIfEEEviiPKiS4_PKT2_iPS5_iPiS4_S9_21rocsparse_index_base_20rocsparse_diag_type_20rocsparse_direction_.uses_vcc, 1
	.set _ZN9rocsparseL24bsrsm_lower_large_kernelILj64ELj16ELb0E21rocsparse_complex_numIfEEEviiPKiS4_PKT2_iPS5_iPiS4_S9_21rocsparse_index_base_20rocsparse_diag_type_20rocsparse_direction_.uses_flat_scratch, 0
	.set _ZN9rocsparseL24bsrsm_lower_large_kernelILj64ELj16ELb0E21rocsparse_complex_numIfEEEviiPKiS4_PKT2_iPS5_iPiS4_S9_21rocsparse_index_base_20rocsparse_diag_type_20rocsparse_direction_.has_dyn_sized_stack, 0
	.set _ZN9rocsparseL24bsrsm_lower_large_kernelILj64ELj16ELb0E21rocsparse_complex_numIfEEEviiPKiS4_PKT2_iPS5_iPiS4_S9_21rocsparse_index_base_20rocsparse_diag_type_20rocsparse_direction_.has_recursion, 0
	.set _ZN9rocsparseL24bsrsm_lower_large_kernelILj64ELj16ELb0E21rocsparse_complex_numIfEEEviiPKiS4_PKT2_iPS5_iPiS4_S9_21rocsparse_index_base_20rocsparse_diag_type_20rocsparse_direction_.has_indirect_call, 0
	.section	.AMDGPU.csdata,"",@progbits
; Kernel info:
; codeLenInByte = 1572
; TotalNumSgprs: 46
; NumVgprs: 18
; ScratchSize: 0
; MemoryBound: 0
; FloatMode: 240
; IeeeMode: 1
; LDSByteSize: 0 bytes/workgroup (compile time only)
; SGPRBlocks: 5
; VGPRBlocks: 4
; NumSGPRsForWavesPerEU: 46
; NumVGPRsForWavesPerEU: 18
; Occupancy: 10
; WaveLimiterHint : 1
; COMPUTE_PGM_RSRC2:SCRATCH_EN: 0
; COMPUTE_PGM_RSRC2:USER_SGPR: 6
; COMPUTE_PGM_RSRC2:TRAP_HANDLER: 0
; COMPUTE_PGM_RSRC2:TGID_X_EN: 1
; COMPUTE_PGM_RSRC2:TGID_Y_EN: 0
; COMPUTE_PGM_RSRC2:TGID_Z_EN: 0
; COMPUTE_PGM_RSRC2:TIDIG_COMP_CNT: 0
	.section	.text._ZN9rocsparseL24bsrsm_upper_large_kernelILj128ELj16ELb0E21rocsparse_complex_numIfEEEviiPKiS4_PKT2_iPS5_iPiS4_S9_21rocsparse_index_base_20rocsparse_diag_type_20rocsparse_direction_,"axG",@progbits,_ZN9rocsparseL24bsrsm_upper_large_kernelILj128ELj16ELb0E21rocsparse_complex_numIfEEEviiPKiS4_PKT2_iPS5_iPiS4_S9_21rocsparse_index_base_20rocsparse_diag_type_20rocsparse_direction_,comdat
	.globl	_ZN9rocsparseL24bsrsm_upper_large_kernelILj128ELj16ELb0E21rocsparse_complex_numIfEEEviiPKiS4_PKT2_iPS5_iPiS4_S9_21rocsparse_index_base_20rocsparse_diag_type_20rocsparse_direction_ ; -- Begin function _ZN9rocsparseL24bsrsm_upper_large_kernelILj128ELj16ELb0E21rocsparse_complex_numIfEEEviiPKiS4_PKT2_iPS5_iPiS4_S9_21rocsparse_index_base_20rocsparse_diag_type_20rocsparse_direction_
	.p2align	8
	.type	_ZN9rocsparseL24bsrsm_upper_large_kernelILj128ELj16ELb0E21rocsparse_complex_numIfEEEviiPKiS4_PKT2_iPS5_iPiS4_S9_21rocsparse_index_base_20rocsparse_diag_type_20rocsparse_direction_,@function
_ZN9rocsparseL24bsrsm_upper_large_kernelILj128ELj16ELb0E21rocsparse_complex_numIfEEEviiPKiS4_PKT2_iPS5_iPiS4_S9_21rocsparse_index_base_20rocsparse_diag_type_20rocsparse_direction_: ; @_ZN9rocsparseL24bsrsm_upper_large_kernelILj128ELj16ELb0E21rocsparse_complex_numIfEEEviiPKiS4_PKT2_iPS5_iPiS4_S9_21rocsparse_index_base_20rocsparse_diag_type_20rocsparse_direction_
; %bb.0:
	s_load_dwordx2 s[24:25], s[4:5], 0x0
	s_load_dwordx4 s[16:19], s[4:5], 0x8
	s_load_dwordx4 s[8:11], s[4:5], 0x38
	s_load_dwordx2 s[20:21], s[4:5], 0x48
	v_lshrrev_b32_e32 v5, 3, v0
	v_and_b32_e32 v8, 7, v0
	s_waitcnt lgkmcnt(0)
	v_cvt_f32_u32_e32 v1, s24
	s_sub_i32 s0, 0, s24
	v_rcp_iflag_f32_e32 v1, v1
	v_mul_f32_e32 v1, 0x4f7ffffe, v1
	v_cvt_u32_f32_e32 v1, v1
	v_readfirstlane_b32 s1, v1
	s_mul_i32 s0, s0, s1
	s_mul_hi_u32 s0, s1, s0
	s_add_i32 s1, s1, s0
	s_mul_hi_u32 s0, s6, s1
	s_mul_i32 s1, s0, s24
	s_sub_i32 s1, s6, s1
	s_add_i32 s2, s0, 1
	s_sub_i32 s3, s1, s24
	s_cmp_ge_u32 s1, s24
	s_cselect_b32 s0, s2, s0
	s_cselect_b32 s1, s3, s1
	s_add_i32 s2, s0, 1
	s_cmp_ge_u32 s1, s24
	s_cselect_b32 s26, s2, s0
	s_mul_i32 s33, s26, s24
	s_sub_i32 s0, s6, s33
	s_ashr_i32 s1, s0, 31
	s_lshl_b64 s[0:1], s[0:1], 2
	s_add_u32 s0, s10, s0
	s_addc_u32 s1, s11, s1
	s_load_dword s6, s[0:1], 0x0
	s_load_dwordx2 s[10:11], s[4:5], 0x18
	s_load_dword s34, s[4:5], 0x20
	s_load_dwordx2 s[22:23], s[4:5], 0x28
	s_load_dword s35, s[4:5], 0x30
	s_load_dwordx4 s[12:15], s[4:5], 0x50
	s_waitcnt lgkmcnt(0)
	s_ashr_i32 s7, s6, 31
	s_lshl_b64 s[0:1], s[6:7], 2
	s_add_u32 s0, s16, s0
	s_addc_u32 s1, s17, s1
	s_load_dwordx2 s[2:3], s[0:1], 0x0
	s_lshl_b32 s36, s26, 4
	s_not_b32 s0, s12
	v_or_b32_e32 v1, s36, v5
	v_cmp_gt_i32_e32 vcc, s25, v1
	s_waitcnt lgkmcnt(0)
	s_sub_i32 s15, s2, s12
	s_add_i32 s4, s3, s0
	s_cmp_lt_i32 s4, s15
	s_mul_i32 s7, s6, s34
	v_cmp_eq_u32_e64 s[0:1], 0, v0
	s_cbranch_scc1 .LBB40_17
; %bb.1:
	s_mul_i32 s5, s34, s4
	v_add_u32_e32 v2, s5, v8
	v_mul_lo_u32 v6, s34, v2
	v_cmp_gt_i32_e64 s[2:3], s34, v8
	s_cmp_lg_u32 s14, 0
	s_cselect_b64 s[16:17], -1, 0
	s_and_b64 s[2:3], vcc, s[2:3]
	s_mul_i32 s37, s35, s34
	s_mul_i32 s38, s34, s34
	s_lshl_b32 s39, s34, 3
	v_mov_b32_e32 v7, 0
	s_branch .LBB40_3
.LBB40_2:                               ;   in Loop: Header=BB40_3 Depth=1
                                        ; implicit-def: $vgpr6
	s_and_b64 vcc, exec, s[26:27]
	s_cbranch_vccnz .LBB40_18
.LBB40_3:                               ; =>This Loop Header: Depth=1
                                        ;     Child Loop BB40_6 Depth 2
                                        ;     Child Loop BB40_10 Depth 2
                                        ;       Child Loop BB40_12 Depth 3
	s_ashr_i32 s5, s4, 31
	s_lshl_b64 s[26:27], s[4:5], 2
	s_add_u32 s26, s18, s26
	s_addc_u32 s27, s19, s27
	global_load_dword v2, v7, s[26:27]
	s_mov_b64 s[26:27], -1
	s_waitcnt vmcnt(0)
	v_readfirstlane_b32 s5, v2
	s_sub_i32 s5, s5, s12
	s_cmp_le_i32 s5, s6
	s_cbranch_scc1 .LBB40_2
; %bb.4:                                ;   in Loop: Header=BB40_3 Depth=1
	s_and_saveexec_b64 s[26:27], s[0:1]
	s_cbranch_execz .LBB40_7
; %bb.5:                                ;   in Loop: Header=BB40_3 Depth=1
	s_add_i32 s28, s5, s33
	s_ashr_i32 s29, s28, 31
	s_lshl_b64 s[28:29], s[28:29], 2
	s_add_u32 s28, s8, s28
	s_addc_u32 s29, s9, s29
	global_load_dword v2, v7, s[28:29] glc
	s_waitcnt vmcnt(0)
	v_cmp_ne_u32_e32 vcc, 0, v2
	s_cbranch_vccnz .LBB40_7
.LBB40_6:                               ;   Parent Loop BB40_3 Depth=1
                                        ; =>  This Inner Loop Header: Depth=2
	global_load_dword v2, v7, s[28:29] glc
	s_waitcnt vmcnt(0)
	v_cmp_eq_u32_e32 vcc, 0, v2
	s_cbranch_vccnz .LBB40_6
.LBB40_7:                               ;   in Loop: Header=BB40_3 Depth=1
	s_or_b64 exec, exec, s[26:27]
	buffer_wbinvl1_vol
	s_barrier
	s_and_saveexec_b64 s[26:27], s[2:3]
	s_cbranch_execz .LBB40_16
; %bb.8:                                ;   in Loop: Header=BB40_3 Depth=1
	s_mul_i32 s28, s37, s5
	s_mul_i32 s40, s4, s34
	v_add_u32_e32 v9, s28, v1
	s_mov_b64 s[28:29], 0
	v_mov_b32_e32 v10, v6
	v_mov_b32_e32 v11, v8
	s_branch .LBB40_10
.LBB40_9:                               ;   in Loop: Header=BB40_10 Depth=2
	v_add_u32_e32 v2, s7, v11
	v_mad_u64_u32 v[2:3], s[30:31], v2, s35, v[1:2]
	v_mov_b32_e32 v4, s23
	v_add_u32_e32 v11, 8, v11
	v_ashrrev_i32_e32 v3, 31, v2
	v_lshlrev_b64 v[2:3], 3, v[2:3]
	v_add_u32_e32 v10, s39, v10
	v_add_co_u32_e32 v2, vcc, s22, v2
	v_addc_co_u32_e32 v3, vcc, v4, v3, vcc
	global_load_dwordx2 v[14:15], v[2:3], off
	v_cmp_le_i32_e32 vcc, s34, v11
	s_or_b64 s[28:29], vcc, s[28:29]
	s_waitcnt vmcnt(0)
	v_sub_f32_e32 v13, v14, v13
	v_sub_f32_e32 v14, v15, v12
	global_store_dwordx2 v[2:3], v[13:14], off
	s_andn2_b64 exec, exec, s[28:29]
	s_cbranch_execz .LBB40_16
.LBB40_10:                              ;   Parent Loop BB40_3 Depth=1
                                        ; =>  This Loop Header: Depth=2
                                        ;       Child Loop BB40_12 Depth 3
	v_mov_b32_e32 v12, 0
	s_mov_b32 s41, 0
	v_mov_b32_e32 v2, v9
	v_mov_b32_e32 v13, 0
	s_branch .LBB40_12
.LBB40_11:                              ;   in Loop: Header=BB40_12 Depth=3
	v_ashrrev_i32_e32 v4, 31, v3
	v_lshlrev_b64 v[3:4], 3, v[3:4]
	v_mov_b32_e32 v14, s11
	v_add_co_u32_e32 v3, vcc, s10, v3
	v_addc_co_u32_e32 v4, vcc, v14, v4, vcc
	global_load_dwordx2 v[14:15], v[3:4], off
	v_ashrrev_i32_e32 v3, 31, v2
	v_lshlrev_b64 v[3:4], 3, v[2:3]
	v_mov_b32_e32 v16, s23
	v_add_co_u32_e32 v3, vcc, s22, v3
	v_addc_co_u32_e32 v4, vcc, v16, v4, vcc
	global_load_dwordx2 v[3:4], v[3:4], off
	s_add_i32 s41, s41, 1
	s_cmp_eq_u32 s34, s41
	v_add_u32_e32 v2, s35, v2
	s_waitcnt vmcnt(0)
	v_fmac_f32_e32 v13, v14, v3
	v_fmac_f32_e32 v12, v15, v3
	v_fma_f32 v13, -v15, v4, v13
	v_fmac_f32_e32 v12, v14, v4
	s_cbranch_scc1 .LBB40_9
.LBB40_12:                              ;   Parent Loop BB40_3 Depth=1
                                        ;     Parent Loop BB40_10 Depth=2
                                        ; =>    This Inner Loop Header: Depth=3
	s_and_b64 vcc, exec, s[16:17]
	s_cbranch_vccz .LBB40_14
; %bb.13:                               ;   in Loop: Header=BB40_12 Depth=3
	s_add_i32 s30, s41, s40
	s_mul_i32 s30, s30, s34
	v_add_u32_e32 v3, s30, v11
	s_cbranch_execnz .LBB40_11
	s_branch .LBB40_15
.LBB40_14:                              ;   in Loop: Header=BB40_12 Depth=3
                                        ; implicit-def: $vgpr3
.LBB40_15:                              ;   in Loop: Header=BB40_12 Depth=3
	v_add_u32_e32 v3, s41, v10
	s_branch .LBB40_11
.LBB40_16:                              ;   in Loop: Header=BB40_3 Depth=1
	s_or_b64 exec, exec, s[26:27]
	s_add_i32 s28, s4, -1
	s_cmp_le_i32 s4, s15
	v_subrev_u32_e32 v6, s38, v6
	s_cselect_b64 s[26:27], -1, 0
	s_mov_b32 s4, s28
	s_and_b64 vcc, exec, s[26:27]
	s_cbranch_vccz .LBB40_3
	s_branch .LBB40_18
.LBB40_17:
	s_mov_b32 s5, s24
.LBB40_18:
	s_cmp_lt_i32 s6, s24
	s_cselect_b64 s[16:17], -1, 0
	s_cmp_eq_u32 s6, s5
	s_cselect_b64 s[0:1], -1, 0
	v_cmp_gt_i32_e32 vcc, s25, v1
	s_and_b64 s[0:1], vcc, s[0:1]
	s_cmp_gt_i32 s34, 0
	s_cselect_b64 s[2:3], -1, 0
	s_and_b64 s[0:1], s[0:1], s[2:3]
	s_and_b64 s[2:3], s[0:1], s[16:17]
	s_mov_b64 s[0:1], 0
	s_and_saveexec_b64 s[18:19], s[2:3]
	s_cbranch_execz .LBB40_35
; %bb.19:
	v_add_u32_e32 v2, s7, v8
	s_cmp_eq_u32 s13, 0
	v_mul_lo_u32 v2, s35, v2
	s_cselect_b64 s[0:1], -1, 0
	s_cmp_lg_u32 s14, 0
	s_cselect_b64 s[14:15], -1, 0
	s_add_i32 s2, s4, 1
	s_mul_i32 s2, s34, s2
	v_add3_u32 v9, v5, v2, s36
	s_add_i32 s2, s2, -1
	v_cndmask_b32_e64 v2, 0, 1, s[0:1]
	s_mul_i32 s13, s4, s34
	s_lshl_b32 s28, s35, 3
	s_mul_i32 s29, s34, s2
	s_mov_b64 s[4:5], 0
	v_cmp_ne_u32_e64 s[0:1], 1, v2
	v_mov_b32_e32 v10, 0
	v_mov_b32_e32 v11, s23
	s_mov_b32 s30, s34
.LBB40_20:                              ; =>This Loop Header: Depth=1
                                        ;     Child Loop BB40_27 Depth 2
	s_add_i32 s31, s30, -1
	v_mov_b32_e32 v4, 1.0
	s_and_b64 vcc, exec, s[0:1]
	v_mov_b32_e32 v5, 0
	s_cbranch_vccnz .LBB40_22
; %bb.21:                               ;   in Loop: Header=BB40_20 Depth=1
	s_add_i32 s2, s31, s13
	s_mul_i32 s2, s2, s34
	s_add_i32 s2, s2, s31
	s_ashr_i32 s3, s2, 31
	s_lshl_b64 s[2:3], s[2:3], 3
	s_add_u32 s2, s10, s2
	s_addc_u32 s3, s11, s3
	global_load_dwordx2 v[4:5], v10, s[2:3]
.LBB40_22:                              ;   in Loop: Header=BB40_20 Depth=1
	s_add_i32 s2, s31, s7
	s_mul_i32 s2, s2, s35
	s_waitcnt vmcnt(0)
	v_add_u32_e32 v2, s2, v1
	v_ashrrev_i32_e32 v3, 31, v2
	v_lshlrev_b64 v[2:3], 3, v[2:3]
	s_waitcnt vmcnt(0)
	v_cmp_eq_f32_e64 s[2:3], 0, v5
	v_add_co_u32_e32 v6, vcc, s22, v2
	v_addc_co_u32_e32 v7, vcc, v11, v3, vcc
	global_load_dwordx2 v[2:3], v[6:7], off
	v_cmp_eq_f32_e32 vcc, 0, v4
	s_and_b64 s[24:25], vcc, s[2:3]
	s_mov_b64 s[2:3], -1
	s_and_b64 vcc, exec, s[24:25]
	s_cbranch_vccnz .LBB40_24
; %bb.23:                               ;   in Loop: Header=BB40_20 Depth=1
	v_mul_f32_e32 v12, v5, v5
	v_fmac_f32_e32 v12, v4, v4
	v_div_scale_f32 v13, s[2:3], v12, v12, 1.0
	v_div_scale_f32 v14, vcc, 1.0, v12, 1.0
	s_mov_b64 s[2:3], s[4:5]
	v_rcp_f32_e32 v15, v13
	v_fma_f32 v16, -v13, v15, 1.0
	v_fmac_f32_e32 v15, v16, v15
	v_mul_f32_e32 v16, v14, v15
	v_fma_f32 v17, -v13, v16, v14
	v_fmac_f32_e32 v16, v17, v15
	v_fma_f32 v13, -v13, v16, v14
	v_div_fmas_f32 v13, v13, v15, v16
	s_waitcnt vmcnt(0)
	v_mul_f32_e32 v14, v5, v3
	v_mul_f32_e64 v5, v5, -v2
	v_fmac_f32_e32 v14, v2, v4
	v_fmac_f32_e32 v5, v3, v4
	v_div_fixup_f32 v3, v13, v12, 1.0
	v_mul_f32_e32 v2, v3, v14
	v_mul_f32_e32 v3, v3, v5
	global_store_dwordx2 v[6:7], v[2:3], off
.LBB40_24:                              ;   in Loop: Header=BB40_20 Depth=1
	v_cmp_gt_i32_e32 vcc, s31, v8
	s_and_saveexec_b64 s[4:5], vcc
	s_cbranch_execz .LBB40_31
; %bb.25:                               ;   in Loop: Header=BB40_20 Depth=1
	s_mov_b64 s[24:25], 0
	v_mov_b32_e32 v4, v9
	v_mov_b32_e32 v7, v8
	s_branch .LBB40_27
.LBB40_26:                              ;   in Loop: Header=BB40_27 Depth=2
	v_ashrrev_i32_e32 v6, 31, v5
	v_lshlrev_b64 v[5:6], 3, v[5:6]
	v_mov_b32_e32 v12, s11
	v_add_co_u32_e32 v5, vcc, s10, v5
	v_addc_co_u32_e32 v6, vcc, v12, v6, vcc
	global_load_dwordx2 v[12:13], v[5:6], off
	v_ashrrev_i32_e32 v5, 31, v4
	v_lshlrev_b64 v[5:6], 3, v[4:5]
	v_mov_b32_e32 v14, s23
	v_add_co_u32_e32 v5, vcc, s22, v5
	v_addc_co_u32_e32 v6, vcc, v14, v6, vcc
	global_load_dwordx2 v[14:15], v[5:6], off
	v_add_u32_e32 v7, 8, v7
	v_cmp_le_i32_e32 vcc, s31, v7
	s_or_b64 s[24:25], vcc, s[24:25]
	v_add_u32_e32 v4, s28, v4
	s_waitcnt vmcnt(1)
	v_mul_f32_e64 v16, v13, -v3
	v_mul_f32_e32 v13, v2, v13
	v_fmac_f32_e32 v16, v2, v12
	v_fmac_f32_e32 v13, v3, v12
	s_waitcnt vmcnt(0)
	v_sub_f32_e32 v12, v14, v16
	v_sub_f32_e32 v13, v15, v13
	global_store_dwordx2 v[5:6], v[12:13], off
	s_andn2_b64 exec, exec, s[24:25]
	s_cbranch_execz .LBB40_31
.LBB40_27:                              ;   Parent Loop BB40_20 Depth=1
                                        ; =>  This Inner Loop Header: Depth=2
	s_and_b64 vcc, exec, s[14:15]
	s_cbranch_vccz .LBB40_29
; %bb.28:                               ;   in Loop: Header=BB40_27 Depth=2
	v_add_u32_e32 v5, s29, v7
	s_cbranch_execnz .LBB40_26
	s_branch .LBB40_30
.LBB40_29:                              ;   in Loop: Header=BB40_27 Depth=2
                                        ; implicit-def: $vgpr5
.LBB40_30:                              ;   in Loop: Header=BB40_27 Depth=2
	v_add_u32_e32 v5, s13, v7
	v_mul_lo_u32 v5, v5, s34
	v_add_u32_e32 v5, s31, v5
	s_branch .LBB40_26
.LBB40_31:                              ;   in Loop: Header=BB40_20 Depth=1
	s_or_b64 exec, exec, s[4:5]
; %bb.32:                               ;   in Loop: Header=BB40_20 Depth=1
	s_sub_i32 s29, s29, s34
	s_cmp_lt_i32 s30, 2
	s_cbranch_scc1 .LBB40_34
; %bb.33:                               ;   in Loop: Header=BB40_20 Depth=1
	s_mov_b32 s30, s31
	s_mov_b64 s[4:5], s[2:3]
	s_branch .LBB40_20
.LBB40_34:
	s_and_b64 s[0:1], s[2:3], exec
.LBB40_35:
	s_or_b64 exec, exec, s[18:19]
	v_cmp_eq_u32_e32 vcc, 0, v0
	s_and_b64 s[2:3], vcc, s[16:17]
	s_waitcnt vmcnt(0)
	buffer_wbinvl1_vol
	s_barrier
	s_and_saveexec_b64 s[4:5], s[2:3]
	s_cbranch_execz .LBB40_39
; %bb.36:
	s_add_i32 s2, s6, s33
	s_ashr_i32 s3, s2, 31
	s_lshl_b64 s[2:3], s[2:3], 2
	s_add_u32 s2, s8, s2
	s_addc_u32 s3, s9, s3
	v_mov_b32_e32 v0, 0
	v_mov_b32_e32 v1, 1
	global_store_dword v0, v1, s[2:3]
	s_and_b64 exec, exec, s[0:1]
	s_cbranch_execz .LBB40_39
; %bb.37:
	v_mbcnt_lo_u32_b32 v0, exec_lo, 0
	v_mbcnt_hi_u32_b32 v0, exec_hi, v0
	v_cmp_eq_u32_e32 vcc, 0, v0
	s_and_b64 exec, exec, vcc
	s_cbranch_execz .LBB40_39
; %bb.38:
	s_add_i32 s0, s6, s12
	v_mov_b32_e32 v0, 0
	v_mov_b32_e32 v1, s0
	global_atomic_smin v0, v1, s[20:21]
.LBB40_39:
	s_endpgm
	.section	.rodata,"a",@progbits
	.p2align	6, 0x0
	.amdhsa_kernel _ZN9rocsparseL24bsrsm_upper_large_kernelILj128ELj16ELb0E21rocsparse_complex_numIfEEEviiPKiS4_PKT2_iPS5_iPiS4_S9_21rocsparse_index_base_20rocsparse_diag_type_20rocsparse_direction_
		.amdhsa_group_segment_fixed_size 0
		.amdhsa_private_segment_fixed_size 0
		.amdhsa_kernarg_size 92
		.amdhsa_user_sgpr_count 6
		.amdhsa_user_sgpr_private_segment_buffer 1
		.amdhsa_user_sgpr_dispatch_ptr 0
		.amdhsa_user_sgpr_queue_ptr 0
		.amdhsa_user_sgpr_kernarg_segment_ptr 1
		.amdhsa_user_sgpr_dispatch_id 0
		.amdhsa_user_sgpr_flat_scratch_init 0
		.amdhsa_user_sgpr_private_segment_size 0
		.amdhsa_uses_dynamic_stack 0
		.amdhsa_system_sgpr_private_segment_wavefront_offset 0
		.amdhsa_system_sgpr_workgroup_id_x 1
		.amdhsa_system_sgpr_workgroup_id_y 0
		.amdhsa_system_sgpr_workgroup_id_z 0
		.amdhsa_system_sgpr_workgroup_info 0
		.amdhsa_system_vgpr_workitem_id 0
		.amdhsa_next_free_vgpr 18
		.amdhsa_next_free_sgpr 42
		.amdhsa_reserve_vcc 1
		.amdhsa_reserve_flat_scratch 0
		.amdhsa_float_round_mode_32 0
		.amdhsa_float_round_mode_16_64 0
		.amdhsa_float_denorm_mode_32 3
		.amdhsa_float_denorm_mode_16_64 3
		.amdhsa_dx10_clamp 1
		.amdhsa_ieee_mode 1
		.amdhsa_fp16_overflow 0
		.amdhsa_exception_fp_ieee_invalid_op 0
		.amdhsa_exception_fp_denorm_src 0
		.amdhsa_exception_fp_ieee_div_zero 0
		.amdhsa_exception_fp_ieee_overflow 0
		.amdhsa_exception_fp_ieee_underflow 0
		.amdhsa_exception_fp_ieee_inexact 0
		.amdhsa_exception_int_div_zero 0
	.end_amdhsa_kernel
	.section	.text._ZN9rocsparseL24bsrsm_upper_large_kernelILj128ELj16ELb0E21rocsparse_complex_numIfEEEviiPKiS4_PKT2_iPS5_iPiS4_S9_21rocsparse_index_base_20rocsparse_diag_type_20rocsparse_direction_,"axG",@progbits,_ZN9rocsparseL24bsrsm_upper_large_kernelILj128ELj16ELb0E21rocsparse_complex_numIfEEEviiPKiS4_PKT2_iPS5_iPiS4_S9_21rocsparse_index_base_20rocsparse_diag_type_20rocsparse_direction_,comdat
.Lfunc_end40:
	.size	_ZN9rocsparseL24bsrsm_upper_large_kernelILj128ELj16ELb0E21rocsparse_complex_numIfEEEviiPKiS4_PKT2_iPS5_iPiS4_S9_21rocsparse_index_base_20rocsparse_diag_type_20rocsparse_direction_, .Lfunc_end40-_ZN9rocsparseL24bsrsm_upper_large_kernelILj128ELj16ELb0E21rocsparse_complex_numIfEEEviiPKiS4_PKT2_iPS5_iPiS4_S9_21rocsparse_index_base_20rocsparse_diag_type_20rocsparse_direction_
                                        ; -- End function
	.set _ZN9rocsparseL24bsrsm_upper_large_kernelILj128ELj16ELb0E21rocsparse_complex_numIfEEEviiPKiS4_PKT2_iPS5_iPiS4_S9_21rocsparse_index_base_20rocsparse_diag_type_20rocsparse_direction_.num_vgpr, 18
	.set _ZN9rocsparseL24bsrsm_upper_large_kernelILj128ELj16ELb0E21rocsparse_complex_numIfEEEviiPKiS4_PKT2_iPS5_iPiS4_S9_21rocsparse_index_base_20rocsparse_diag_type_20rocsparse_direction_.num_agpr, 0
	.set _ZN9rocsparseL24bsrsm_upper_large_kernelILj128ELj16ELb0E21rocsparse_complex_numIfEEEviiPKiS4_PKT2_iPS5_iPiS4_S9_21rocsparse_index_base_20rocsparse_diag_type_20rocsparse_direction_.numbered_sgpr, 42
	.set _ZN9rocsparseL24bsrsm_upper_large_kernelILj128ELj16ELb0E21rocsparse_complex_numIfEEEviiPKiS4_PKT2_iPS5_iPiS4_S9_21rocsparse_index_base_20rocsparse_diag_type_20rocsparse_direction_.num_named_barrier, 0
	.set _ZN9rocsparseL24bsrsm_upper_large_kernelILj128ELj16ELb0E21rocsparse_complex_numIfEEEviiPKiS4_PKT2_iPS5_iPiS4_S9_21rocsparse_index_base_20rocsparse_diag_type_20rocsparse_direction_.private_seg_size, 0
	.set _ZN9rocsparseL24bsrsm_upper_large_kernelILj128ELj16ELb0E21rocsparse_complex_numIfEEEviiPKiS4_PKT2_iPS5_iPiS4_S9_21rocsparse_index_base_20rocsparse_diag_type_20rocsparse_direction_.uses_vcc, 1
	.set _ZN9rocsparseL24bsrsm_upper_large_kernelILj128ELj16ELb0E21rocsparse_complex_numIfEEEviiPKiS4_PKT2_iPS5_iPiS4_S9_21rocsparse_index_base_20rocsparse_diag_type_20rocsparse_direction_.uses_flat_scratch, 0
	.set _ZN9rocsparseL24bsrsm_upper_large_kernelILj128ELj16ELb0E21rocsparse_complex_numIfEEEviiPKiS4_PKT2_iPS5_iPiS4_S9_21rocsparse_index_base_20rocsparse_diag_type_20rocsparse_direction_.has_dyn_sized_stack, 0
	.set _ZN9rocsparseL24bsrsm_upper_large_kernelILj128ELj16ELb0E21rocsparse_complex_numIfEEEviiPKiS4_PKT2_iPS5_iPiS4_S9_21rocsparse_index_base_20rocsparse_diag_type_20rocsparse_direction_.has_recursion, 0
	.set _ZN9rocsparseL24bsrsm_upper_large_kernelILj128ELj16ELb0E21rocsparse_complex_numIfEEEviiPKiS4_PKT2_iPS5_iPiS4_S9_21rocsparse_index_base_20rocsparse_diag_type_20rocsparse_direction_.has_indirect_call, 0
	.section	.AMDGPU.csdata,"",@progbits
; Kernel info:
; codeLenInByte = 1560
; TotalNumSgprs: 46
; NumVgprs: 18
; ScratchSize: 0
; MemoryBound: 0
; FloatMode: 240
; IeeeMode: 1
; LDSByteSize: 0 bytes/workgroup (compile time only)
; SGPRBlocks: 5
; VGPRBlocks: 4
; NumSGPRsForWavesPerEU: 46
; NumVGPRsForWavesPerEU: 18
; Occupancy: 10
; WaveLimiterHint : 1
; COMPUTE_PGM_RSRC2:SCRATCH_EN: 0
; COMPUTE_PGM_RSRC2:USER_SGPR: 6
; COMPUTE_PGM_RSRC2:TRAP_HANDLER: 0
; COMPUTE_PGM_RSRC2:TGID_X_EN: 1
; COMPUTE_PGM_RSRC2:TGID_Y_EN: 0
; COMPUTE_PGM_RSRC2:TGID_Z_EN: 0
; COMPUTE_PGM_RSRC2:TIDIG_COMP_CNT: 0
	.section	.text._ZN9rocsparseL24bsrsm_lower_large_kernelILj128ELj16ELb0E21rocsparse_complex_numIfEEEviiPKiS4_PKT2_iPS5_iPiS4_S9_21rocsparse_index_base_20rocsparse_diag_type_20rocsparse_direction_,"axG",@progbits,_ZN9rocsparseL24bsrsm_lower_large_kernelILj128ELj16ELb0E21rocsparse_complex_numIfEEEviiPKiS4_PKT2_iPS5_iPiS4_S9_21rocsparse_index_base_20rocsparse_diag_type_20rocsparse_direction_,comdat
	.globl	_ZN9rocsparseL24bsrsm_lower_large_kernelILj128ELj16ELb0E21rocsparse_complex_numIfEEEviiPKiS4_PKT2_iPS5_iPiS4_S9_21rocsparse_index_base_20rocsparse_diag_type_20rocsparse_direction_ ; -- Begin function _ZN9rocsparseL24bsrsm_lower_large_kernelILj128ELj16ELb0E21rocsparse_complex_numIfEEEviiPKiS4_PKT2_iPS5_iPiS4_S9_21rocsparse_index_base_20rocsparse_diag_type_20rocsparse_direction_
	.p2align	8
	.type	_ZN9rocsparseL24bsrsm_lower_large_kernelILj128ELj16ELb0E21rocsparse_complex_numIfEEEviiPKiS4_PKT2_iPS5_iPiS4_S9_21rocsparse_index_base_20rocsparse_diag_type_20rocsparse_direction_,@function
_ZN9rocsparseL24bsrsm_lower_large_kernelILj128ELj16ELb0E21rocsparse_complex_numIfEEEviiPKiS4_PKT2_iPS5_iPiS4_S9_21rocsparse_index_base_20rocsparse_diag_type_20rocsparse_direction_: ; @_ZN9rocsparseL24bsrsm_lower_large_kernelILj128ELj16ELb0E21rocsparse_complex_numIfEEEviiPKiS4_PKT2_iPS5_iPiS4_S9_21rocsparse_index_base_20rocsparse_diag_type_20rocsparse_direction_
; %bb.0:
	s_load_dwordx2 s[24:25], s[4:5], 0x0
	s_load_dwordx4 s[16:19], s[4:5], 0x8
	s_load_dwordx4 s[8:11], s[4:5], 0x38
	s_load_dwordx2 s[20:21], s[4:5], 0x48
	v_lshrrev_b32_e32 v6, 3, v0
	v_and_b32_e32 v5, 7, v0
	s_waitcnt lgkmcnt(0)
	v_cvt_f32_u32_e32 v1, s24
	s_sub_i32 s0, 0, s24
	v_rcp_iflag_f32_e32 v1, v1
	v_mul_f32_e32 v1, 0x4f7ffffe, v1
	v_cvt_u32_f32_e32 v1, v1
	v_readfirstlane_b32 s1, v1
	s_mul_i32 s0, s0, s1
	s_mul_hi_u32 s0, s1, s0
	s_add_i32 s1, s1, s0
	s_mul_hi_u32 s0, s6, s1
	s_mul_i32 s1, s0, s24
	s_sub_i32 s1, s6, s1
	s_add_i32 s2, s0, 1
	s_sub_i32 s3, s1, s24
	s_cmp_ge_u32 s1, s24
	s_cselect_b32 s0, s2, s0
	s_cselect_b32 s1, s3, s1
	s_add_i32 s2, s0, 1
	s_cmp_ge_u32 s1, s24
	s_cselect_b32 s26, s2, s0
	s_mul_i32 s33, s26, s24
	s_sub_i32 s0, s6, s33
	s_ashr_i32 s1, s0, 31
	s_lshl_b64 s[0:1], s[0:1], 2
	s_add_u32 s0, s10, s0
	s_addc_u32 s1, s11, s1
	s_load_dword s6, s[0:1], 0x0
	s_load_dwordx2 s[10:11], s[4:5], 0x18
	s_load_dword s34, s[4:5], 0x20
	s_load_dwordx2 s[22:23], s[4:5], 0x28
	s_load_dword s35, s[4:5], 0x30
	s_load_dwordx4 s[12:15], s[4:5], 0x50
	s_waitcnt lgkmcnt(0)
	s_ashr_i32 s7, s6, 31
	s_lshl_b64 s[0:1], s[6:7], 2
	s_add_u32 s0, s16, s0
	s_addc_u32 s1, s17, s1
	s_load_dwordx2 s[2:3], s[0:1], 0x0
	s_lshl_b32 s36, s26, 4
	v_or_b32_e32 v1, s36, v6
	s_mul_i32 s7, s6, s34
	v_cmp_gt_i32_e32 vcc, s25, v1
	s_waitcnt lgkmcnt(0)
	s_sub_i32 s4, s2, s12
	s_cmp_ge_i32 s2, s3
	s_mul_i32 s37, s34, s34
	v_cmp_eq_u32_e64 s[0:1], 0, v0
	s_cbranch_scc1 .LBB41_17
; %bb.1:
	s_mul_i32 s5, s34, s4
	v_add_u32_e32 v2, s5, v5
	v_mul_lo_u32 v7, s34, v2
	s_sub_i32 s15, s3, s12
	v_cmp_gt_i32_e64 s[2:3], s34, v5
	s_cmp_lg_u32 s14, 0
	s_cselect_b64 s[16:17], -1, 0
	s_and_b64 s[2:3], vcc, s[2:3]
	s_mul_i32 s38, s35, s34
	s_lshl_b32 s39, s34, 3
	v_mov_b32_e32 v8, 0
	s_branch .LBB41_3
.LBB41_2:                               ;   in Loop: Header=BB41_3 Depth=1
                                        ; implicit-def: $vgpr7
	s_and_b64 vcc, exec, s[26:27]
	s_cbranch_vccnz .LBB41_18
.LBB41_3:                               ; =>This Loop Header: Depth=1
                                        ;     Child Loop BB41_6 Depth 2
                                        ;     Child Loop BB41_10 Depth 2
                                        ;       Child Loop BB41_12 Depth 3
	s_ashr_i32 s5, s4, 31
	s_lshl_b64 s[26:27], s[4:5], 2
	s_add_u32 s26, s18, s26
	s_addc_u32 s27, s19, s27
	global_load_dword v2, v8, s[26:27]
	s_mov_b64 s[26:27], -1
	s_waitcnt vmcnt(0)
	v_readfirstlane_b32 s5, v2
	s_sub_i32 s5, s5, s12
	s_cmp_ge_i32 s5, s6
	s_cbranch_scc1 .LBB41_2
; %bb.4:                                ;   in Loop: Header=BB41_3 Depth=1
	s_and_saveexec_b64 s[26:27], s[0:1]
	s_cbranch_execz .LBB41_7
; %bb.5:                                ;   in Loop: Header=BB41_3 Depth=1
	s_add_i32 s28, s5, s33
	s_ashr_i32 s29, s28, 31
	s_lshl_b64 s[28:29], s[28:29], 2
	s_add_u32 s28, s8, s28
	s_addc_u32 s29, s9, s29
	global_load_dword v2, v8, s[28:29] glc
	s_waitcnt vmcnt(0)
	v_cmp_ne_u32_e32 vcc, 0, v2
	s_cbranch_vccnz .LBB41_7
.LBB41_6:                               ;   Parent Loop BB41_3 Depth=1
                                        ; =>  This Inner Loop Header: Depth=2
	global_load_dword v2, v8, s[28:29] glc
	s_waitcnt vmcnt(0)
	v_cmp_eq_u32_e32 vcc, 0, v2
	s_cbranch_vccnz .LBB41_6
.LBB41_7:                               ;   in Loop: Header=BB41_3 Depth=1
	s_or_b64 exec, exec, s[26:27]
	buffer_wbinvl1_vol
	s_barrier
	s_and_saveexec_b64 s[26:27], s[2:3]
	s_cbranch_execz .LBB41_16
; %bb.8:                                ;   in Loop: Header=BB41_3 Depth=1
	s_mul_i32 s28, s38, s5
	s_mul_i32 s40, s4, s34
	v_add_u32_e32 v9, s28, v1
	s_mov_b64 s[28:29], 0
	v_mov_b32_e32 v10, v7
	v_mov_b32_e32 v11, v5
	s_branch .LBB41_10
.LBB41_9:                               ;   in Loop: Header=BB41_10 Depth=2
	v_add_u32_e32 v2, s7, v11
	v_mad_u64_u32 v[2:3], s[30:31], v2, s35, v[1:2]
	v_mov_b32_e32 v4, s23
	v_add_u32_e32 v11, 8, v11
	v_ashrrev_i32_e32 v3, 31, v2
	v_lshlrev_b64 v[2:3], 3, v[2:3]
	v_add_u32_e32 v10, s39, v10
	v_add_co_u32_e32 v2, vcc, s22, v2
	v_addc_co_u32_e32 v3, vcc, v4, v3, vcc
	global_load_dwordx2 v[14:15], v[2:3], off
	v_cmp_le_i32_e32 vcc, s34, v11
	s_or_b64 s[28:29], vcc, s[28:29]
	s_waitcnt vmcnt(0)
	v_sub_f32_e32 v13, v14, v13
	v_sub_f32_e32 v14, v15, v12
	global_store_dwordx2 v[2:3], v[13:14], off
	s_andn2_b64 exec, exec, s[28:29]
	s_cbranch_execz .LBB41_16
.LBB41_10:                              ;   Parent Loop BB41_3 Depth=1
                                        ; =>  This Loop Header: Depth=2
                                        ;       Child Loop BB41_12 Depth 3
	v_mov_b32_e32 v12, 0
	s_mov_b32 s41, 0
	v_mov_b32_e32 v2, v9
	v_mov_b32_e32 v13, 0
	s_branch .LBB41_12
.LBB41_11:                              ;   in Loop: Header=BB41_12 Depth=3
	v_ashrrev_i32_e32 v4, 31, v3
	v_lshlrev_b64 v[3:4], 3, v[3:4]
	v_mov_b32_e32 v14, s11
	v_add_co_u32_e32 v3, vcc, s10, v3
	v_addc_co_u32_e32 v4, vcc, v14, v4, vcc
	global_load_dwordx2 v[14:15], v[3:4], off
	v_ashrrev_i32_e32 v3, 31, v2
	v_lshlrev_b64 v[3:4], 3, v[2:3]
	v_mov_b32_e32 v16, s23
	v_add_co_u32_e32 v3, vcc, s22, v3
	v_addc_co_u32_e32 v4, vcc, v16, v4, vcc
	global_load_dwordx2 v[3:4], v[3:4], off
	s_add_i32 s41, s41, 1
	s_cmp_eq_u32 s34, s41
	v_add_u32_e32 v2, s35, v2
	s_waitcnt vmcnt(0)
	v_fmac_f32_e32 v13, v14, v3
	v_fmac_f32_e32 v12, v15, v3
	v_fma_f32 v13, -v15, v4, v13
	v_fmac_f32_e32 v12, v14, v4
	s_cbranch_scc1 .LBB41_9
.LBB41_12:                              ;   Parent Loop BB41_3 Depth=1
                                        ;     Parent Loop BB41_10 Depth=2
                                        ; =>    This Inner Loop Header: Depth=3
	s_and_b64 vcc, exec, s[16:17]
	s_cbranch_vccz .LBB41_14
; %bb.13:                               ;   in Loop: Header=BB41_12 Depth=3
	s_add_i32 s30, s41, s40
	s_mul_i32 s30, s30, s34
	v_add_u32_e32 v3, s30, v11
	s_cbranch_execnz .LBB41_11
	s_branch .LBB41_15
.LBB41_14:                              ;   in Loop: Header=BB41_12 Depth=3
                                        ; implicit-def: $vgpr3
.LBB41_15:                              ;   in Loop: Header=BB41_12 Depth=3
	v_add_u32_e32 v3, s41, v10
	s_branch .LBB41_11
.LBB41_16:                              ;   in Loop: Header=BB41_3 Depth=1
	s_or_b64 exec, exec, s[26:27]
	s_add_i32 s4, s4, 1
	s_cmp_ge_i32 s4, s15
	v_add_u32_e32 v7, s37, v7
	s_cselect_b64 s[26:27], -1, 0
	s_and_b64 vcc, exec, s[26:27]
	s_cbranch_vccz .LBB41_3
	s_branch .LBB41_18
.LBB41_17:
	s_mov_b32 s5, s24
.LBB41_18:
	s_cmp_lt_i32 s6, s24
	s_cselect_b64 s[16:17], -1, 0
	s_cmp_eq_u32 s6, s5
	s_cselect_b64 s[0:1], -1, 0
	v_cmp_gt_i32_e32 vcc, s25, v1
	s_and_b64 s[0:1], vcc, s[0:1]
	s_cmp_gt_i32 s34, 0
	s_cselect_b64 s[2:3], -1, 0
	s_and_b64 s[0:1], s[0:1], s[2:3]
	s_mov_b32 s28, 0
	s_and_b64 s[2:3], s[0:1], s[16:17]
	s_mov_b64 s[0:1], 0
	s_and_saveexec_b64 s[18:19], s[2:3]
	s_cbranch_execz .LBB41_33
; %bb.19:
	v_add_u32_e32 v2, s7, v5
	v_mul_lo_u32 v2, s35, v2
	s_cmp_eq_u32 s13, 0
	s_cselect_b64 s[0:1], -1, 0
	s_cmp_lg_u32 s14, 0
	v_add_u32_e32 v2, s35, v2
	v_add3_u32 v9, v6, v2, s36
	v_cndmask_b32_e64 v2, 0, 1, s[0:1]
	s_cselect_b64 s[14:15], -1, 0
	v_add_u32_e32 v8, 1, v5
	s_mul_i32 s13, s4, s34
	s_lshl_b32 s29, s35, 3
	s_mul_i32 s30, s4, s37
	s_add_i32 s31, s34, 1
	s_mov_b64 s[4:5], 0
	v_cmp_ne_u32_e64 s[0:1], 1, v2
	v_mov_b32_e32 v10, 0
	v_mov_b32_e32 v11, s23
	v_mov_b32_e32 v4, 1.0
	s_and_b64 vcc, exec, s[0:1]
	v_mov_b32_e32 v5, 0
	s_cbranch_vccnz .LBB41_21
.LBB41_20:
	s_add_i32 s2, s28, s13
	s_mul_i32 s2, s2, s34
	s_add_i32 s2, s2, s28
	s_ashr_i32 s3, s2, 31
	s_lshl_b64 s[2:3], s[2:3], 3
	s_add_u32 s2, s10, s2
	s_addc_u32 s3, s11, s3
	global_load_dwordx2 v[4:5], v10, s[2:3]
.LBB41_21:                              ; =>This Loop Header: Depth=1
                                        ;     Child Loop BB41_26 Depth 2
	s_add_i32 s2, s28, s7
	s_mul_i32 s2, s2, s35
	s_waitcnt vmcnt(0)
	v_add_u32_e32 v2, s2, v1
	v_ashrrev_i32_e32 v3, 31, v2
	v_lshlrev_b64 v[2:3], 3, v[2:3]
	s_waitcnt vmcnt(0)
	v_cmp_eq_f32_e64 s[2:3], 0, v5
	v_add_co_u32_e32 v6, vcc, s22, v2
	v_addc_co_u32_e32 v7, vcc, v11, v3, vcc
	global_load_dwordx2 v[2:3], v[6:7], off
	v_cmp_eq_f32_e32 vcc, 0, v4
	s_and_b64 s[24:25], vcc, s[2:3]
	s_mov_b64 s[2:3], -1
	s_and_b64 vcc, exec, s[24:25]
	s_cbranch_vccnz .LBB41_23
; %bb.22:                               ;   in Loop: Header=BB41_21 Depth=1
	v_mul_f32_e32 v12, v5, v5
	v_fmac_f32_e32 v12, v4, v4
	v_div_scale_f32 v13, s[2:3], v12, v12, 1.0
	v_div_scale_f32 v14, vcc, 1.0, v12, 1.0
	s_mov_b64 s[2:3], s[4:5]
	v_rcp_f32_e32 v15, v13
	v_fma_f32 v16, -v13, v15, 1.0
	v_fmac_f32_e32 v15, v16, v15
	v_mul_f32_e32 v16, v14, v15
	v_fma_f32 v17, -v13, v16, v14
	v_fmac_f32_e32 v16, v17, v15
	v_fma_f32 v13, -v13, v16, v14
	v_div_fmas_f32 v13, v13, v15, v16
	s_waitcnt vmcnt(0)
	v_mul_f32_e32 v14, v5, v3
	v_mul_f32_e64 v5, v5, -v2
	v_fmac_f32_e32 v14, v2, v4
	v_fmac_f32_e32 v5, v3, v4
	v_div_fixup_f32 v3, v13, v12, 1.0
	v_mul_f32_e32 v2, v3, v14
	v_mul_f32_e32 v3, v3, v5
	global_store_dwordx2 v[6:7], v[2:3], off
.LBB41_23:                              ;   in Loop: Header=BB41_21 Depth=1
	v_add_u32_e32 v7, s28, v8
	v_cmp_gt_i32_e32 vcc, s34, v7
	s_and_saveexec_b64 s[4:5], vcc
	s_cbranch_execz .LBB41_30
; %bb.24:                               ;   in Loop: Header=BB41_21 Depth=1
	s_mov_b64 s[24:25], 0
	v_mov_b32_e32 v4, v9
	v_mov_b32_e32 v12, v8
	s_branch .LBB41_26
.LBB41_25:                              ;   in Loop: Header=BB41_26 Depth=2
	v_ashrrev_i32_e32 v6, 31, v5
	v_lshlrev_b64 v[5:6], 3, v[5:6]
	v_mov_b32_e32 v13, s11
	v_add_co_u32_e32 v5, vcc, s10, v5
	v_addc_co_u32_e32 v6, vcc, v13, v6, vcc
	global_load_dwordx2 v[13:14], v[5:6], off
	v_ashrrev_i32_e32 v5, 31, v4
	v_lshlrev_b64 v[5:6], 3, v[4:5]
	v_mov_b32_e32 v15, s23
	v_add_co_u32_e32 v5, vcc, s22, v5
	v_addc_co_u32_e32 v6, vcc, v15, v6, vcc
	global_load_dwordx2 v[15:16], v[5:6], off
	v_add_u32_e32 v12, 8, v12
	v_add_u32_e32 v17, s28, v12
	v_cmp_le_i32_e32 vcc, s34, v17
	v_add_u32_e32 v7, 8, v7
	s_or_b64 s[24:25], vcc, s[24:25]
	v_add_u32_e32 v4, s29, v4
	s_waitcnt vmcnt(1)
	v_mul_f32_e64 v17, v14, -v3
	v_mul_f32_e32 v14, v2, v14
	v_fmac_f32_e32 v17, v2, v13
	v_fmac_f32_e32 v14, v3, v13
	s_waitcnt vmcnt(0)
	v_sub_f32_e32 v13, v15, v17
	v_sub_f32_e32 v14, v16, v14
	global_store_dwordx2 v[5:6], v[13:14], off
	s_andn2_b64 exec, exec, s[24:25]
	s_cbranch_execz .LBB41_30
.LBB41_26:                              ;   Parent Loop BB41_21 Depth=1
                                        ; =>  This Inner Loop Header: Depth=2
	s_and_b64 vcc, exec, s[14:15]
	s_cbranch_vccz .LBB41_28
; %bb.27:                               ;   in Loop: Header=BB41_26 Depth=2
	v_add_u32_e32 v5, s30, v12
	s_cbranch_execnz .LBB41_25
	s_branch .LBB41_29
.LBB41_28:                              ;   in Loop: Header=BB41_26 Depth=2
                                        ; implicit-def: $vgpr5
.LBB41_29:                              ;   in Loop: Header=BB41_26 Depth=2
	v_add_u32_e32 v5, s13, v7
	v_mul_lo_u32 v5, v5, s34
	v_add_u32_e32 v5, s28, v5
	s_branch .LBB41_25
.LBB41_30:                              ;   in Loop: Header=BB41_21 Depth=1
	s_or_b64 exec, exec, s[4:5]
	s_add_i32 s28, s28, 1
	s_add_i32 s30, s30, s31
	s_cmp_eq_u32 s28, s34
	v_add_u32_e32 v9, s35, v9
	s_cbranch_scc1 .LBB41_32
; %bb.31:                               ;   in Loop: Header=BB41_21 Depth=1
	s_mov_b64 s[4:5], s[2:3]
	v_mov_b32_e32 v4, 1.0
	s_and_b64 vcc, exec, s[0:1]
	v_mov_b32_e32 v5, 0
	s_cbranch_vccnz .LBB41_21
	s_branch .LBB41_20
.LBB41_32:
	s_and_b64 s[0:1], s[2:3], exec
.LBB41_33:
	s_or_b64 exec, exec, s[18:19]
	v_cmp_eq_u32_e32 vcc, 0, v0
	s_and_b64 s[2:3], vcc, s[16:17]
	s_waitcnt vmcnt(0)
	buffer_wbinvl1_vol
	s_barrier
	s_and_saveexec_b64 s[4:5], s[2:3]
	s_cbranch_execz .LBB41_37
; %bb.34:
	s_add_i32 s2, s6, s33
	s_ashr_i32 s3, s2, 31
	s_lshl_b64 s[2:3], s[2:3], 2
	s_add_u32 s2, s8, s2
	s_addc_u32 s3, s9, s3
	v_mov_b32_e32 v0, 0
	v_mov_b32_e32 v1, 1
	global_store_dword v0, v1, s[2:3]
	s_and_b64 exec, exec, s[0:1]
	s_cbranch_execz .LBB41_37
; %bb.35:
	v_mbcnt_lo_u32_b32 v0, exec_lo, 0
	v_mbcnt_hi_u32_b32 v0, exec_hi, v0
	v_cmp_eq_u32_e32 vcc, 0, v0
	s_and_b64 exec, exec, vcc
	s_cbranch_execz .LBB41_37
; %bb.36:
	s_add_i32 s0, s6, s12
	v_mov_b32_e32 v0, 0
	v_mov_b32_e32 v1, s0
	global_atomic_smin v0, v1, s[20:21]
.LBB41_37:
	s_endpgm
	.section	.rodata,"a",@progbits
	.p2align	6, 0x0
	.amdhsa_kernel _ZN9rocsparseL24bsrsm_lower_large_kernelILj128ELj16ELb0E21rocsparse_complex_numIfEEEviiPKiS4_PKT2_iPS5_iPiS4_S9_21rocsparse_index_base_20rocsparse_diag_type_20rocsparse_direction_
		.amdhsa_group_segment_fixed_size 0
		.amdhsa_private_segment_fixed_size 0
		.amdhsa_kernarg_size 92
		.amdhsa_user_sgpr_count 6
		.amdhsa_user_sgpr_private_segment_buffer 1
		.amdhsa_user_sgpr_dispatch_ptr 0
		.amdhsa_user_sgpr_queue_ptr 0
		.amdhsa_user_sgpr_kernarg_segment_ptr 1
		.amdhsa_user_sgpr_dispatch_id 0
		.amdhsa_user_sgpr_flat_scratch_init 0
		.amdhsa_user_sgpr_private_segment_size 0
		.amdhsa_uses_dynamic_stack 0
		.amdhsa_system_sgpr_private_segment_wavefront_offset 0
		.amdhsa_system_sgpr_workgroup_id_x 1
		.amdhsa_system_sgpr_workgroup_id_y 0
		.amdhsa_system_sgpr_workgroup_id_z 0
		.amdhsa_system_sgpr_workgroup_info 0
		.amdhsa_system_vgpr_workitem_id 0
		.amdhsa_next_free_vgpr 18
		.amdhsa_next_free_sgpr 42
		.amdhsa_reserve_vcc 1
		.amdhsa_reserve_flat_scratch 0
		.amdhsa_float_round_mode_32 0
		.amdhsa_float_round_mode_16_64 0
		.amdhsa_float_denorm_mode_32 3
		.amdhsa_float_denorm_mode_16_64 3
		.amdhsa_dx10_clamp 1
		.amdhsa_ieee_mode 1
		.amdhsa_fp16_overflow 0
		.amdhsa_exception_fp_ieee_invalid_op 0
		.amdhsa_exception_fp_denorm_src 0
		.amdhsa_exception_fp_ieee_div_zero 0
		.amdhsa_exception_fp_ieee_overflow 0
		.amdhsa_exception_fp_ieee_underflow 0
		.amdhsa_exception_fp_ieee_inexact 0
		.amdhsa_exception_int_div_zero 0
	.end_amdhsa_kernel
	.section	.text._ZN9rocsparseL24bsrsm_lower_large_kernelILj128ELj16ELb0E21rocsparse_complex_numIfEEEviiPKiS4_PKT2_iPS5_iPiS4_S9_21rocsparse_index_base_20rocsparse_diag_type_20rocsparse_direction_,"axG",@progbits,_ZN9rocsparseL24bsrsm_lower_large_kernelILj128ELj16ELb0E21rocsparse_complex_numIfEEEviiPKiS4_PKT2_iPS5_iPiS4_S9_21rocsparse_index_base_20rocsparse_diag_type_20rocsparse_direction_,comdat
.Lfunc_end41:
	.size	_ZN9rocsparseL24bsrsm_lower_large_kernelILj128ELj16ELb0E21rocsparse_complex_numIfEEEviiPKiS4_PKT2_iPS5_iPiS4_S9_21rocsparse_index_base_20rocsparse_diag_type_20rocsparse_direction_, .Lfunc_end41-_ZN9rocsparseL24bsrsm_lower_large_kernelILj128ELj16ELb0E21rocsparse_complex_numIfEEEviiPKiS4_PKT2_iPS5_iPiS4_S9_21rocsparse_index_base_20rocsparse_diag_type_20rocsparse_direction_
                                        ; -- End function
	.set _ZN9rocsparseL24bsrsm_lower_large_kernelILj128ELj16ELb0E21rocsparse_complex_numIfEEEviiPKiS4_PKT2_iPS5_iPiS4_S9_21rocsparse_index_base_20rocsparse_diag_type_20rocsparse_direction_.num_vgpr, 18
	.set _ZN9rocsparseL24bsrsm_lower_large_kernelILj128ELj16ELb0E21rocsparse_complex_numIfEEEviiPKiS4_PKT2_iPS5_iPiS4_S9_21rocsparse_index_base_20rocsparse_diag_type_20rocsparse_direction_.num_agpr, 0
	.set _ZN9rocsparseL24bsrsm_lower_large_kernelILj128ELj16ELb0E21rocsparse_complex_numIfEEEviiPKiS4_PKT2_iPS5_iPiS4_S9_21rocsparse_index_base_20rocsparse_diag_type_20rocsparse_direction_.numbered_sgpr, 42
	.set _ZN9rocsparseL24bsrsm_lower_large_kernelILj128ELj16ELb0E21rocsparse_complex_numIfEEEviiPKiS4_PKT2_iPS5_iPiS4_S9_21rocsparse_index_base_20rocsparse_diag_type_20rocsparse_direction_.num_named_barrier, 0
	.set _ZN9rocsparseL24bsrsm_lower_large_kernelILj128ELj16ELb0E21rocsparse_complex_numIfEEEviiPKiS4_PKT2_iPS5_iPiS4_S9_21rocsparse_index_base_20rocsparse_diag_type_20rocsparse_direction_.private_seg_size, 0
	.set _ZN9rocsparseL24bsrsm_lower_large_kernelILj128ELj16ELb0E21rocsparse_complex_numIfEEEviiPKiS4_PKT2_iPS5_iPiS4_S9_21rocsparse_index_base_20rocsparse_diag_type_20rocsparse_direction_.uses_vcc, 1
	.set _ZN9rocsparseL24bsrsm_lower_large_kernelILj128ELj16ELb0E21rocsparse_complex_numIfEEEviiPKiS4_PKT2_iPS5_iPiS4_S9_21rocsparse_index_base_20rocsparse_diag_type_20rocsparse_direction_.uses_flat_scratch, 0
	.set _ZN9rocsparseL24bsrsm_lower_large_kernelILj128ELj16ELb0E21rocsparse_complex_numIfEEEviiPKiS4_PKT2_iPS5_iPiS4_S9_21rocsparse_index_base_20rocsparse_diag_type_20rocsparse_direction_.has_dyn_sized_stack, 0
	.set _ZN9rocsparseL24bsrsm_lower_large_kernelILj128ELj16ELb0E21rocsparse_complex_numIfEEEviiPKiS4_PKT2_iPS5_iPiS4_S9_21rocsparse_index_base_20rocsparse_diag_type_20rocsparse_direction_.has_recursion, 0
	.set _ZN9rocsparseL24bsrsm_lower_large_kernelILj128ELj16ELb0E21rocsparse_complex_numIfEEEviiPKiS4_PKT2_iPS5_iPiS4_S9_21rocsparse_index_base_20rocsparse_diag_type_20rocsparse_direction_.has_indirect_call, 0
	.section	.AMDGPU.csdata,"",@progbits
; Kernel info:
; codeLenInByte = 1580
; TotalNumSgprs: 46
; NumVgprs: 18
; ScratchSize: 0
; MemoryBound: 0
; FloatMode: 240
; IeeeMode: 1
; LDSByteSize: 0 bytes/workgroup (compile time only)
; SGPRBlocks: 5
; VGPRBlocks: 4
; NumSGPRsForWavesPerEU: 46
; NumVGPRsForWavesPerEU: 18
; Occupancy: 10
; WaveLimiterHint : 1
; COMPUTE_PGM_RSRC2:SCRATCH_EN: 0
; COMPUTE_PGM_RSRC2:USER_SGPR: 6
; COMPUTE_PGM_RSRC2:TRAP_HANDLER: 0
; COMPUTE_PGM_RSRC2:TGID_X_EN: 1
; COMPUTE_PGM_RSRC2:TGID_Y_EN: 0
; COMPUTE_PGM_RSRC2:TGID_Z_EN: 0
; COMPUTE_PGM_RSRC2:TIDIG_COMP_CNT: 0
	.section	.text._ZN9rocsparseL24bsrsm_upper_large_kernelILj256ELj16ELb0E21rocsparse_complex_numIfEEEviiPKiS4_PKT2_iPS5_iPiS4_S9_21rocsparse_index_base_20rocsparse_diag_type_20rocsparse_direction_,"axG",@progbits,_ZN9rocsparseL24bsrsm_upper_large_kernelILj256ELj16ELb0E21rocsparse_complex_numIfEEEviiPKiS4_PKT2_iPS5_iPiS4_S9_21rocsparse_index_base_20rocsparse_diag_type_20rocsparse_direction_,comdat
	.globl	_ZN9rocsparseL24bsrsm_upper_large_kernelILj256ELj16ELb0E21rocsparse_complex_numIfEEEviiPKiS4_PKT2_iPS5_iPiS4_S9_21rocsparse_index_base_20rocsparse_diag_type_20rocsparse_direction_ ; -- Begin function _ZN9rocsparseL24bsrsm_upper_large_kernelILj256ELj16ELb0E21rocsparse_complex_numIfEEEviiPKiS4_PKT2_iPS5_iPiS4_S9_21rocsparse_index_base_20rocsparse_diag_type_20rocsparse_direction_
	.p2align	8
	.type	_ZN9rocsparseL24bsrsm_upper_large_kernelILj256ELj16ELb0E21rocsparse_complex_numIfEEEviiPKiS4_PKT2_iPS5_iPiS4_S9_21rocsparse_index_base_20rocsparse_diag_type_20rocsparse_direction_,@function
_ZN9rocsparseL24bsrsm_upper_large_kernelILj256ELj16ELb0E21rocsparse_complex_numIfEEEviiPKiS4_PKT2_iPS5_iPiS4_S9_21rocsparse_index_base_20rocsparse_diag_type_20rocsparse_direction_: ; @_ZN9rocsparseL24bsrsm_upper_large_kernelILj256ELj16ELb0E21rocsparse_complex_numIfEEEviiPKiS4_PKT2_iPS5_iPiS4_S9_21rocsparse_index_base_20rocsparse_diag_type_20rocsparse_direction_
; %bb.0:
	s_load_dwordx2 s[24:25], s[4:5], 0x0
	s_load_dwordx4 s[16:19], s[4:5], 0x8
	s_load_dwordx4 s[8:11], s[4:5], 0x38
	s_load_dwordx2 s[20:21], s[4:5], 0x48
	v_lshrrev_b32_e32 v5, 4, v0
	v_and_b32_e32 v8, 15, v0
	s_waitcnt lgkmcnt(0)
	v_cvt_f32_u32_e32 v1, s24
	s_sub_i32 s0, 0, s24
	v_rcp_iflag_f32_e32 v1, v1
	v_mul_f32_e32 v1, 0x4f7ffffe, v1
	v_cvt_u32_f32_e32 v1, v1
	v_readfirstlane_b32 s1, v1
	s_mul_i32 s0, s0, s1
	s_mul_hi_u32 s0, s1, s0
	s_add_i32 s1, s1, s0
	s_mul_hi_u32 s0, s6, s1
	s_mul_i32 s1, s0, s24
	s_sub_i32 s1, s6, s1
	s_add_i32 s2, s0, 1
	s_sub_i32 s3, s1, s24
	s_cmp_ge_u32 s1, s24
	s_cselect_b32 s0, s2, s0
	s_cselect_b32 s1, s3, s1
	s_add_i32 s2, s0, 1
	s_cmp_ge_u32 s1, s24
	s_cselect_b32 s26, s2, s0
	s_mul_i32 s33, s26, s24
	s_sub_i32 s0, s6, s33
	s_ashr_i32 s1, s0, 31
	s_lshl_b64 s[0:1], s[0:1], 2
	s_add_u32 s0, s10, s0
	s_addc_u32 s1, s11, s1
	s_load_dword s6, s[0:1], 0x0
	s_load_dwordx2 s[10:11], s[4:5], 0x18
	s_load_dword s34, s[4:5], 0x20
	s_load_dwordx2 s[22:23], s[4:5], 0x28
	s_load_dword s35, s[4:5], 0x30
	s_load_dwordx4 s[12:15], s[4:5], 0x50
	s_waitcnt lgkmcnt(0)
	s_ashr_i32 s7, s6, 31
	s_lshl_b64 s[0:1], s[6:7], 2
	s_add_u32 s0, s16, s0
	s_addc_u32 s1, s17, s1
	s_load_dwordx2 s[2:3], s[0:1], 0x0
	s_lshl_b32 s36, s26, 4
	s_not_b32 s0, s12
	v_or_b32_e32 v1, s36, v5
	v_cmp_gt_i32_e32 vcc, s25, v1
	s_waitcnt lgkmcnt(0)
	s_sub_i32 s15, s2, s12
	s_add_i32 s4, s3, s0
	s_cmp_lt_i32 s4, s15
	s_mul_i32 s7, s6, s34
	v_cmp_eq_u32_e64 s[0:1], 0, v0
	s_cbranch_scc1 .LBB42_17
; %bb.1:
	s_mul_i32 s5, s34, s4
	v_add_u32_e32 v2, s5, v8
	v_mul_lo_u32 v6, s34, v2
	v_cmp_gt_i32_e64 s[2:3], s34, v8
	s_cmp_lg_u32 s14, 0
	s_cselect_b64 s[16:17], -1, 0
	s_and_b64 s[2:3], vcc, s[2:3]
	s_mul_i32 s37, s35, s34
	s_mul_i32 s38, s34, s34
	s_lshl_b32 s39, s34, 4
	v_mov_b32_e32 v7, 0
	s_branch .LBB42_3
.LBB42_2:                               ;   in Loop: Header=BB42_3 Depth=1
                                        ; implicit-def: $vgpr6
	s_and_b64 vcc, exec, s[26:27]
	s_cbranch_vccnz .LBB42_18
.LBB42_3:                               ; =>This Loop Header: Depth=1
                                        ;     Child Loop BB42_6 Depth 2
                                        ;     Child Loop BB42_10 Depth 2
                                        ;       Child Loop BB42_12 Depth 3
	s_ashr_i32 s5, s4, 31
	s_lshl_b64 s[26:27], s[4:5], 2
	s_add_u32 s26, s18, s26
	s_addc_u32 s27, s19, s27
	global_load_dword v2, v7, s[26:27]
	s_mov_b64 s[26:27], -1
	s_waitcnt vmcnt(0)
	v_readfirstlane_b32 s5, v2
	s_sub_i32 s5, s5, s12
	s_cmp_le_i32 s5, s6
	s_cbranch_scc1 .LBB42_2
; %bb.4:                                ;   in Loop: Header=BB42_3 Depth=1
	s_and_saveexec_b64 s[26:27], s[0:1]
	s_cbranch_execz .LBB42_7
; %bb.5:                                ;   in Loop: Header=BB42_3 Depth=1
	s_add_i32 s28, s5, s33
	s_ashr_i32 s29, s28, 31
	s_lshl_b64 s[28:29], s[28:29], 2
	s_add_u32 s28, s8, s28
	s_addc_u32 s29, s9, s29
	global_load_dword v2, v7, s[28:29] glc
	s_waitcnt vmcnt(0)
	v_cmp_ne_u32_e32 vcc, 0, v2
	s_cbranch_vccnz .LBB42_7
.LBB42_6:                               ;   Parent Loop BB42_3 Depth=1
                                        ; =>  This Inner Loop Header: Depth=2
	global_load_dword v2, v7, s[28:29] glc
	s_waitcnt vmcnt(0)
	v_cmp_eq_u32_e32 vcc, 0, v2
	s_cbranch_vccnz .LBB42_6
.LBB42_7:                               ;   in Loop: Header=BB42_3 Depth=1
	s_or_b64 exec, exec, s[26:27]
	buffer_wbinvl1_vol
	s_barrier
	s_and_saveexec_b64 s[26:27], s[2:3]
	s_cbranch_execz .LBB42_16
; %bb.8:                                ;   in Loop: Header=BB42_3 Depth=1
	s_mul_i32 s28, s37, s5
	s_mul_i32 s40, s4, s34
	v_add_u32_e32 v9, s28, v1
	s_mov_b64 s[28:29], 0
	v_mov_b32_e32 v10, v6
	v_mov_b32_e32 v11, v8
	s_branch .LBB42_10
.LBB42_9:                               ;   in Loop: Header=BB42_10 Depth=2
	v_add_u32_e32 v2, s7, v11
	v_mad_u64_u32 v[2:3], s[30:31], v2, s35, v[1:2]
	v_mov_b32_e32 v4, s23
	v_add_u32_e32 v11, 16, v11
	v_ashrrev_i32_e32 v3, 31, v2
	v_lshlrev_b64 v[2:3], 3, v[2:3]
	v_add_u32_e32 v10, s39, v10
	v_add_co_u32_e32 v2, vcc, s22, v2
	v_addc_co_u32_e32 v3, vcc, v4, v3, vcc
	global_load_dwordx2 v[14:15], v[2:3], off
	v_cmp_le_i32_e32 vcc, s34, v11
	s_or_b64 s[28:29], vcc, s[28:29]
	s_waitcnt vmcnt(0)
	v_sub_f32_e32 v13, v14, v13
	v_sub_f32_e32 v14, v15, v12
	global_store_dwordx2 v[2:3], v[13:14], off
	s_andn2_b64 exec, exec, s[28:29]
	s_cbranch_execz .LBB42_16
.LBB42_10:                              ;   Parent Loop BB42_3 Depth=1
                                        ; =>  This Loop Header: Depth=2
                                        ;       Child Loop BB42_12 Depth 3
	v_mov_b32_e32 v12, 0
	s_mov_b32 s41, 0
	v_mov_b32_e32 v2, v9
	v_mov_b32_e32 v13, 0
	s_branch .LBB42_12
.LBB42_11:                              ;   in Loop: Header=BB42_12 Depth=3
	v_ashrrev_i32_e32 v4, 31, v3
	v_lshlrev_b64 v[3:4], 3, v[3:4]
	v_mov_b32_e32 v14, s11
	v_add_co_u32_e32 v3, vcc, s10, v3
	v_addc_co_u32_e32 v4, vcc, v14, v4, vcc
	global_load_dwordx2 v[14:15], v[3:4], off
	v_ashrrev_i32_e32 v3, 31, v2
	v_lshlrev_b64 v[3:4], 3, v[2:3]
	v_mov_b32_e32 v16, s23
	v_add_co_u32_e32 v3, vcc, s22, v3
	v_addc_co_u32_e32 v4, vcc, v16, v4, vcc
	global_load_dwordx2 v[3:4], v[3:4], off
	s_add_i32 s41, s41, 1
	s_cmp_eq_u32 s34, s41
	v_add_u32_e32 v2, s35, v2
	s_waitcnt vmcnt(0)
	v_fmac_f32_e32 v13, v14, v3
	v_fmac_f32_e32 v12, v15, v3
	v_fma_f32 v13, -v15, v4, v13
	v_fmac_f32_e32 v12, v14, v4
	s_cbranch_scc1 .LBB42_9
.LBB42_12:                              ;   Parent Loop BB42_3 Depth=1
                                        ;     Parent Loop BB42_10 Depth=2
                                        ; =>    This Inner Loop Header: Depth=3
	s_and_b64 vcc, exec, s[16:17]
	s_cbranch_vccz .LBB42_14
; %bb.13:                               ;   in Loop: Header=BB42_12 Depth=3
	s_add_i32 s30, s41, s40
	s_mul_i32 s30, s30, s34
	v_add_u32_e32 v3, s30, v11
	s_cbranch_execnz .LBB42_11
	s_branch .LBB42_15
.LBB42_14:                              ;   in Loop: Header=BB42_12 Depth=3
                                        ; implicit-def: $vgpr3
.LBB42_15:                              ;   in Loop: Header=BB42_12 Depth=3
	v_add_u32_e32 v3, s41, v10
	s_branch .LBB42_11
.LBB42_16:                              ;   in Loop: Header=BB42_3 Depth=1
	s_or_b64 exec, exec, s[26:27]
	s_add_i32 s28, s4, -1
	s_cmp_le_i32 s4, s15
	v_subrev_u32_e32 v6, s38, v6
	s_cselect_b64 s[26:27], -1, 0
	s_mov_b32 s4, s28
	s_and_b64 vcc, exec, s[26:27]
	s_cbranch_vccz .LBB42_3
	s_branch .LBB42_18
.LBB42_17:
	s_mov_b32 s5, s24
.LBB42_18:
	s_cmp_lt_i32 s6, s24
	s_cselect_b64 s[16:17], -1, 0
	s_cmp_eq_u32 s6, s5
	s_cselect_b64 s[0:1], -1, 0
	v_cmp_gt_i32_e32 vcc, s25, v1
	s_and_b64 s[0:1], vcc, s[0:1]
	s_cmp_gt_i32 s34, 0
	s_cselect_b64 s[2:3], -1, 0
	s_and_b64 s[0:1], s[0:1], s[2:3]
	s_and_b64 s[2:3], s[0:1], s[16:17]
	s_mov_b64 s[0:1], 0
	s_and_saveexec_b64 s[18:19], s[2:3]
	s_cbranch_execz .LBB42_35
; %bb.19:
	v_add_u32_e32 v2, s7, v8
	s_cmp_eq_u32 s13, 0
	v_mul_lo_u32 v2, s35, v2
	s_cselect_b64 s[0:1], -1, 0
	s_cmp_lg_u32 s14, 0
	s_cselect_b64 s[14:15], -1, 0
	s_add_i32 s2, s4, 1
	s_mul_i32 s2, s34, s2
	v_add3_u32 v9, v5, v2, s36
	s_add_i32 s2, s2, -1
	v_cndmask_b32_e64 v2, 0, 1, s[0:1]
	s_mul_i32 s13, s4, s34
	s_lshl_b32 s28, s35, 4
	s_mul_i32 s29, s34, s2
	s_mov_b64 s[4:5], 0
	v_cmp_ne_u32_e64 s[0:1], 1, v2
	v_mov_b32_e32 v10, 0
	v_mov_b32_e32 v11, s23
	s_mov_b32 s30, s34
.LBB42_20:                              ; =>This Loop Header: Depth=1
                                        ;     Child Loop BB42_27 Depth 2
	s_add_i32 s31, s30, -1
	v_mov_b32_e32 v4, 1.0
	s_and_b64 vcc, exec, s[0:1]
	v_mov_b32_e32 v5, 0
	s_cbranch_vccnz .LBB42_22
; %bb.21:                               ;   in Loop: Header=BB42_20 Depth=1
	s_add_i32 s2, s31, s13
	s_mul_i32 s2, s2, s34
	s_add_i32 s2, s2, s31
	s_ashr_i32 s3, s2, 31
	s_lshl_b64 s[2:3], s[2:3], 3
	s_add_u32 s2, s10, s2
	s_addc_u32 s3, s11, s3
	global_load_dwordx2 v[4:5], v10, s[2:3]
.LBB42_22:                              ;   in Loop: Header=BB42_20 Depth=1
	s_add_i32 s2, s31, s7
	s_mul_i32 s2, s2, s35
	s_waitcnt vmcnt(0)
	v_add_u32_e32 v2, s2, v1
	v_ashrrev_i32_e32 v3, 31, v2
	v_lshlrev_b64 v[2:3], 3, v[2:3]
	s_waitcnt vmcnt(0)
	v_cmp_eq_f32_e64 s[2:3], 0, v5
	v_add_co_u32_e32 v6, vcc, s22, v2
	v_addc_co_u32_e32 v7, vcc, v11, v3, vcc
	global_load_dwordx2 v[2:3], v[6:7], off
	v_cmp_eq_f32_e32 vcc, 0, v4
	s_and_b64 s[24:25], vcc, s[2:3]
	s_mov_b64 s[2:3], -1
	s_and_b64 vcc, exec, s[24:25]
	s_cbranch_vccnz .LBB42_24
; %bb.23:                               ;   in Loop: Header=BB42_20 Depth=1
	v_mul_f32_e32 v12, v5, v5
	v_fmac_f32_e32 v12, v4, v4
	v_div_scale_f32 v13, s[2:3], v12, v12, 1.0
	v_div_scale_f32 v14, vcc, 1.0, v12, 1.0
	s_mov_b64 s[2:3], s[4:5]
	v_rcp_f32_e32 v15, v13
	v_fma_f32 v16, -v13, v15, 1.0
	v_fmac_f32_e32 v15, v16, v15
	v_mul_f32_e32 v16, v14, v15
	v_fma_f32 v17, -v13, v16, v14
	v_fmac_f32_e32 v16, v17, v15
	v_fma_f32 v13, -v13, v16, v14
	v_div_fmas_f32 v13, v13, v15, v16
	s_waitcnt vmcnt(0)
	v_mul_f32_e32 v14, v5, v3
	v_mul_f32_e64 v5, v5, -v2
	v_fmac_f32_e32 v14, v2, v4
	v_fmac_f32_e32 v5, v3, v4
	v_div_fixup_f32 v3, v13, v12, 1.0
	v_mul_f32_e32 v2, v3, v14
	v_mul_f32_e32 v3, v3, v5
	global_store_dwordx2 v[6:7], v[2:3], off
.LBB42_24:                              ;   in Loop: Header=BB42_20 Depth=1
	v_cmp_gt_i32_e32 vcc, s31, v8
	s_and_saveexec_b64 s[4:5], vcc
	s_cbranch_execz .LBB42_31
; %bb.25:                               ;   in Loop: Header=BB42_20 Depth=1
	s_mov_b64 s[24:25], 0
	v_mov_b32_e32 v4, v9
	v_mov_b32_e32 v7, v8
	s_branch .LBB42_27
.LBB42_26:                              ;   in Loop: Header=BB42_27 Depth=2
	v_ashrrev_i32_e32 v6, 31, v5
	v_lshlrev_b64 v[5:6], 3, v[5:6]
	v_mov_b32_e32 v12, s11
	v_add_co_u32_e32 v5, vcc, s10, v5
	v_addc_co_u32_e32 v6, vcc, v12, v6, vcc
	global_load_dwordx2 v[12:13], v[5:6], off
	v_ashrrev_i32_e32 v5, 31, v4
	v_lshlrev_b64 v[5:6], 3, v[4:5]
	v_mov_b32_e32 v14, s23
	v_add_co_u32_e32 v5, vcc, s22, v5
	v_addc_co_u32_e32 v6, vcc, v14, v6, vcc
	global_load_dwordx2 v[14:15], v[5:6], off
	v_add_u32_e32 v7, 16, v7
	v_cmp_le_i32_e32 vcc, s31, v7
	s_or_b64 s[24:25], vcc, s[24:25]
	v_add_u32_e32 v4, s28, v4
	s_waitcnt vmcnt(1)
	v_mul_f32_e64 v16, v13, -v3
	v_mul_f32_e32 v13, v2, v13
	v_fmac_f32_e32 v16, v2, v12
	v_fmac_f32_e32 v13, v3, v12
	s_waitcnt vmcnt(0)
	v_sub_f32_e32 v12, v14, v16
	v_sub_f32_e32 v13, v15, v13
	global_store_dwordx2 v[5:6], v[12:13], off
	s_andn2_b64 exec, exec, s[24:25]
	s_cbranch_execz .LBB42_31
.LBB42_27:                              ;   Parent Loop BB42_20 Depth=1
                                        ; =>  This Inner Loop Header: Depth=2
	s_and_b64 vcc, exec, s[14:15]
	s_cbranch_vccz .LBB42_29
; %bb.28:                               ;   in Loop: Header=BB42_27 Depth=2
	v_add_u32_e32 v5, s29, v7
	s_cbranch_execnz .LBB42_26
	s_branch .LBB42_30
.LBB42_29:                              ;   in Loop: Header=BB42_27 Depth=2
                                        ; implicit-def: $vgpr5
.LBB42_30:                              ;   in Loop: Header=BB42_27 Depth=2
	v_add_u32_e32 v5, s13, v7
	v_mul_lo_u32 v5, v5, s34
	v_add_u32_e32 v5, s31, v5
	s_branch .LBB42_26
.LBB42_31:                              ;   in Loop: Header=BB42_20 Depth=1
	s_or_b64 exec, exec, s[4:5]
; %bb.32:                               ;   in Loop: Header=BB42_20 Depth=1
	s_sub_i32 s29, s29, s34
	s_cmp_lt_i32 s30, 2
	s_cbranch_scc1 .LBB42_34
; %bb.33:                               ;   in Loop: Header=BB42_20 Depth=1
	s_mov_b32 s30, s31
	s_mov_b64 s[4:5], s[2:3]
	s_branch .LBB42_20
.LBB42_34:
	s_and_b64 s[0:1], s[2:3], exec
.LBB42_35:
	s_or_b64 exec, exec, s[18:19]
	v_cmp_eq_u32_e32 vcc, 0, v0
	s_and_b64 s[2:3], vcc, s[16:17]
	s_waitcnt vmcnt(0)
	buffer_wbinvl1_vol
	s_barrier
	s_and_saveexec_b64 s[4:5], s[2:3]
	s_cbranch_execz .LBB42_39
; %bb.36:
	s_add_i32 s2, s6, s33
	s_ashr_i32 s3, s2, 31
	s_lshl_b64 s[2:3], s[2:3], 2
	s_add_u32 s2, s8, s2
	s_addc_u32 s3, s9, s3
	v_mov_b32_e32 v0, 0
	v_mov_b32_e32 v1, 1
	global_store_dword v0, v1, s[2:3]
	s_and_b64 exec, exec, s[0:1]
	s_cbranch_execz .LBB42_39
; %bb.37:
	v_mbcnt_lo_u32_b32 v0, exec_lo, 0
	v_mbcnt_hi_u32_b32 v0, exec_hi, v0
	v_cmp_eq_u32_e32 vcc, 0, v0
	s_and_b64 exec, exec, vcc
	s_cbranch_execz .LBB42_39
; %bb.38:
	s_add_i32 s0, s6, s12
	v_mov_b32_e32 v0, 0
	v_mov_b32_e32 v1, s0
	global_atomic_smin v0, v1, s[20:21]
.LBB42_39:
	s_endpgm
	.section	.rodata,"a",@progbits
	.p2align	6, 0x0
	.amdhsa_kernel _ZN9rocsparseL24bsrsm_upper_large_kernelILj256ELj16ELb0E21rocsparse_complex_numIfEEEviiPKiS4_PKT2_iPS5_iPiS4_S9_21rocsparse_index_base_20rocsparse_diag_type_20rocsparse_direction_
		.amdhsa_group_segment_fixed_size 0
		.amdhsa_private_segment_fixed_size 0
		.amdhsa_kernarg_size 92
		.amdhsa_user_sgpr_count 6
		.amdhsa_user_sgpr_private_segment_buffer 1
		.amdhsa_user_sgpr_dispatch_ptr 0
		.amdhsa_user_sgpr_queue_ptr 0
		.amdhsa_user_sgpr_kernarg_segment_ptr 1
		.amdhsa_user_sgpr_dispatch_id 0
		.amdhsa_user_sgpr_flat_scratch_init 0
		.amdhsa_user_sgpr_private_segment_size 0
		.amdhsa_uses_dynamic_stack 0
		.amdhsa_system_sgpr_private_segment_wavefront_offset 0
		.amdhsa_system_sgpr_workgroup_id_x 1
		.amdhsa_system_sgpr_workgroup_id_y 0
		.amdhsa_system_sgpr_workgroup_id_z 0
		.amdhsa_system_sgpr_workgroup_info 0
		.amdhsa_system_vgpr_workitem_id 0
		.amdhsa_next_free_vgpr 18
		.amdhsa_next_free_sgpr 42
		.amdhsa_reserve_vcc 1
		.amdhsa_reserve_flat_scratch 0
		.amdhsa_float_round_mode_32 0
		.amdhsa_float_round_mode_16_64 0
		.amdhsa_float_denorm_mode_32 3
		.amdhsa_float_denorm_mode_16_64 3
		.amdhsa_dx10_clamp 1
		.amdhsa_ieee_mode 1
		.amdhsa_fp16_overflow 0
		.amdhsa_exception_fp_ieee_invalid_op 0
		.amdhsa_exception_fp_denorm_src 0
		.amdhsa_exception_fp_ieee_div_zero 0
		.amdhsa_exception_fp_ieee_overflow 0
		.amdhsa_exception_fp_ieee_underflow 0
		.amdhsa_exception_fp_ieee_inexact 0
		.amdhsa_exception_int_div_zero 0
	.end_amdhsa_kernel
	.section	.text._ZN9rocsparseL24bsrsm_upper_large_kernelILj256ELj16ELb0E21rocsparse_complex_numIfEEEviiPKiS4_PKT2_iPS5_iPiS4_S9_21rocsparse_index_base_20rocsparse_diag_type_20rocsparse_direction_,"axG",@progbits,_ZN9rocsparseL24bsrsm_upper_large_kernelILj256ELj16ELb0E21rocsparse_complex_numIfEEEviiPKiS4_PKT2_iPS5_iPiS4_S9_21rocsparse_index_base_20rocsparse_diag_type_20rocsparse_direction_,comdat
.Lfunc_end42:
	.size	_ZN9rocsparseL24bsrsm_upper_large_kernelILj256ELj16ELb0E21rocsparse_complex_numIfEEEviiPKiS4_PKT2_iPS5_iPiS4_S9_21rocsparse_index_base_20rocsparse_diag_type_20rocsparse_direction_, .Lfunc_end42-_ZN9rocsparseL24bsrsm_upper_large_kernelILj256ELj16ELb0E21rocsparse_complex_numIfEEEviiPKiS4_PKT2_iPS5_iPiS4_S9_21rocsparse_index_base_20rocsparse_diag_type_20rocsparse_direction_
                                        ; -- End function
	.set _ZN9rocsparseL24bsrsm_upper_large_kernelILj256ELj16ELb0E21rocsparse_complex_numIfEEEviiPKiS4_PKT2_iPS5_iPiS4_S9_21rocsparse_index_base_20rocsparse_diag_type_20rocsparse_direction_.num_vgpr, 18
	.set _ZN9rocsparseL24bsrsm_upper_large_kernelILj256ELj16ELb0E21rocsparse_complex_numIfEEEviiPKiS4_PKT2_iPS5_iPiS4_S9_21rocsparse_index_base_20rocsparse_diag_type_20rocsparse_direction_.num_agpr, 0
	.set _ZN9rocsparseL24bsrsm_upper_large_kernelILj256ELj16ELb0E21rocsparse_complex_numIfEEEviiPKiS4_PKT2_iPS5_iPiS4_S9_21rocsparse_index_base_20rocsparse_diag_type_20rocsparse_direction_.numbered_sgpr, 42
	.set _ZN9rocsparseL24bsrsm_upper_large_kernelILj256ELj16ELb0E21rocsparse_complex_numIfEEEviiPKiS4_PKT2_iPS5_iPiS4_S9_21rocsparse_index_base_20rocsparse_diag_type_20rocsparse_direction_.num_named_barrier, 0
	.set _ZN9rocsparseL24bsrsm_upper_large_kernelILj256ELj16ELb0E21rocsparse_complex_numIfEEEviiPKiS4_PKT2_iPS5_iPiS4_S9_21rocsparse_index_base_20rocsparse_diag_type_20rocsparse_direction_.private_seg_size, 0
	.set _ZN9rocsparseL24bsrsm_upper_large_kernelILj256ELj16ELb0E21rocsparse_complex_numIfEEEviiPKiS4_PKT2_iPS5_iPiS4_S9_21rocsparse_index_base_20rocsparse_diag_type_20rocsparse_direction_.uses_vcc, 1
	.set _ZN9rocsparseL24bsrsm_upper_large_kernelILj256ELj16ELb0E21rocsparse_complex_numIfEEEviiPKiS4_PKT2_iPS5_iPiS4_S9_21rocsparse_index_base_20rocsparse_diag_type_20rocsparse_direction_.uses_flat_scratch, 0
	.set _ZN9rocsparseL24bsrsm_upper_large_kernelILj256ELj16ELb0E21rocsparse_complex_numIfEEEviiPKiS4_PKT2_iPS5_iPiS4_S9_21rocsparse_index_base_20rocsparse_diag_type_20rocsparse_direction_.has_dyn_sized_stack, 0
	.set _ZN9rocsparseL24bsrsm_upper_large_kernelILj256ELj16ELb0E21rocsparse_complex_numIfEEEviiPKiS4_PKT2_iPS5_iPiS4_S9_21rocsparse_index_base_20rocsparse_diag_type_20rocsparse_direction_.has_recursion, 0
	.set _ZN9rocsparseL24bsrsm_upper_large_kernelILj256ELj16ELb0E21rocsparse_complex_numIfEEEviiPKiS4_PKT2_iPS5_iPiS4_S9_21rocsparse_index_base_20rocsparse_diag_type_20rocsparse_direction_.has_indirect_call, 0
	.section	.AMDGPU.csdata,"",@progbits
; Kernel info:
; codeLenInByte = 1560
; TotalNumSgprs: 46
; NumVgprs: 18
; ScratchSize: 0
; MemoryBound: 0
; FloatMode: 240
; IeeeMode: 1
; LDSByteSize: 0 bytes/workgroup (compile time only)
; SGPRBlocks: 5
; VGPRBlocks: 4
; NumSGPRsForWavesPerEU: 46
; NumVGPRsForWavesPerEU: 18
; Occupancy: 10
; WaveLimiterHint : 1
; COMPUTE_PGM_RSRC2:SCRATCH_EN: 0
; COMPUTE_PGM_RSRC2:USER_SGPR: 6
; COMPUTE_PGM_RSRC2:TRAP_HANDLER: 0
; COMPUTE_PGM_RSRC2:TGID_X_EN: 1
; COMPUTE_PGM_RSRC2:TGID_Y_EN: 0
; COMPUTE_PGM_RSRC2:TGID_Z_EN: 0
; COMPUTE_PGM_RSRC2:TIDIG_COMP_CNT: 0
	.section	.text._ZN9rocsparseL24bsrsm_lower_large_kernelILj256ELj16ELb0E21rocsparse_complex_numIfEEEviiPKiS4_PKT2_iPS5_iPiS4_S9_21rocsparse_index_base_20rocsparse_diag_type_20rocsparse_direction_,"axG",@progbits,_ZN9rocsparseL24bsrsm_lower_large_kernelILj256ELj16ELb0E21rocsparse_complex_numIfEEEviiPKiS4_PKT2_iPS5_iPiS4_S9_21rocsparse_index_base_20rocsparse_diag_type_20rocsparse_direction_,comdat
	.globl	_ZN9rocsparseL24bsrsm_lower_large_kernelILj256ELj16ELb0E21rocsparse_complex_numIfEEEviiPKiS4_PKT2_iPS5_iPiS4_S9_21rocsparse_index_base_20rocsparse_diag_type_20rocsparse_direction_ ; -- Begin function _ZN9rocsparseL24bsrsm_lower_large_kernelILj256ELj16ELb0E21rocsparse_complex_numIfEEEviiPKiS4_PKT2_iPS5_iPiS4_S9_21rocsparse_index_base_20rocsparse_diag_type_20rocsparse_direction_
	.p2align	8
	.type	_ZN9rocsparseL24bsrsm_lower_large_kernelILj256ELj16ELb0E21rocsparse_complex_numIfEEEviiPKiS4_PKT2_iPS5_iPiS4_S9_21rocsparse_index_base_20rocsparse_diag_type_20rocsparse_direction_,@function
_ZN9rocsparseL24bsrsm_lower_large_kernelILj256ELj16ELb0E21rocsparse_complex_numIfEEEviiPKiS4_PKT2_iPS5_iPiS4_S9_21rocsparse_index_base_20rocsparse_diag_type_20rocsparse_direction_: ; @_ZN9rocsparseL24bsrsm_lower_large_kernelILj256ELj16ELb0E21rocsparse_complex_numIfEEEviiPKiS4_PKT2_iPS5_iPiS4_S9_21rocsparse_index_base_20rocsparse_diag_type_20rocsparse_direction_
; %bb.0:
	s_load_dwordx2 s[24:25], s[4:5], 0x0
	s_load_dwordx4 s[16:19], s[4:5], 0x8
	s_load_dwordx4 s[8:11], s[4:5], 0x38
	s_load_dwordx2 s[20:21], s[4:5], 0x48
	v_lshrrev_b32_e32 v6, 4, v0
	v_and_b32_e32 v5, 15, v0
	s_waitcnt lgkmcnt(0)
	v_cvt_f32_u32_e32 v1, s24
	s_sub_i32 s0, 0, s24
	v_rcp_iflag_f32_e32 v1, v1
	v_mul_f32_e32 v1, 0x4f7ffffe, v1
	v_cvt_u32_f32_e32 v1, v1
	v_readfirstlane_b32 s1, v1
	s_mul_i32 s0, s0, s1
	s_mul_hi_u32 s0, s1, s0
	s_add_i32 s1, s1, s0
	s_mul_hi_u32 s0, s6, s1
	s_mul_i32 s1, s0, s24
	s_sub_i32 s1, s6, s1
	s_add_i32 s2, s0, 1
	s_sub_i32 s3, s1, s24
	s_cmp_ge_u32 s1, s24
	s_cselect_b32 s0, s2, s0
	s_cselect_b32 s1, s3, s1
	s_add_i32 s2, s0, 1
	s_cmp_ge_u32 s1, s24
	s_cselect_b32 s26, s2, s0
	s_mul_i32 s33, s26, s24
	s_sub_i32 s0, s6, s33
	s_ashr_i32 s1, s0, 31
	s_lshl_b64 s[0:1], s[0:1], 2
	s_add_u32 s0, s10, s0
	s_addc_u32 s1, s11, s1
	s_load_dword s6, s[0:1], 0x0
	s_load_dwordx2 s[10:11], s[4:5], 0x18
	s_load_dword s34, s[4:5], 0x20
	s_load_dwordx2 s[22:23], s[4:5], 0x28
	s_load_dword s35, s[4:5], 0x30
	s_load_dwordx4 s[12:15], s[4:5], 0x50
	s_waitcnt lgkmcnt(0)
	s_ashr_i32 s7, s6, 31
	s_lshl_b64 s[0:1], s[6:7], 2
	s_add_u32 s0, s16, s0
	s_addc_u32 s1, s17, s1
	s_load_dwordx2 s[2:3], s[0:1], 0x0
	s_lshl_b32 s36, s26, 4
	v_or_b32_e32 v1, s36, v6
	s_mul_i32 s7, s6, s34
	v_cmp_gt_i32_e32 vcc, s25, v1
	s_waitcnt lgkmcnt(0)
	s_sub_i32 s4, s2, s12
	s_cmp_ge_i32 s2, s3
	s_mul_i32 s37, s34, s34
	v_cmp_eq_u32_e64 s[0:1], 0, v0
	s_cbranch_scc1 .LBB43_17
; %bb.1:
	s_mul_i32 s5, s34, s4
	v_add_u32_e32 v2, s5, v5
	v_mul_lo_u32 v7, s34, v2
	s_sub_i32 s15, s3, s12
	v_cmp_gt_i32_e64 s[2:3], s34, v5
	s_cmp_lg_u32 s14, 0
	s_cselect_b64 s[16:17], -1, 0
	s_and_b64 s[2:3], vcc, s[2:3]
	s_mul_i32 s38, s35, s34
	s_lshl_b32 s39, s34, 4
	v_mov_b32_e32 v8, 0
	s_branch .LBB43_3
.LBB43_2:                               ;   in Loop: Header=BB43_3 Depth=1
                                        ; implicit-def: $vgpr7
	s_and_b64 vcc, exec, s[26:27]
	s_cbranch_vccnz .LBB43_18
.LBB43_3:                               ; =>This Loop Header: Depth=1
                                        ;     Child Loop BB43_6 Depth 2
                                        ;     Child Loop BB43_10 Depth 2
                                        ;       Child Loop BB43_12 Depth 3
	s_ashr_i32 s5, s4, 31
	s_lshl_b64 s[26:27], s[4:5], 2
	s_add_u32 s26, s18, s26
	s_addc_u32 s27, s19, s27
	global_load_dword v2, v8, s[26:27]
	s_mov_b64 s[26:27], -1
	s_waitcnt vmcnt(0)
	v_readfirstlane_b32 s5, v2
	s_sub_i32 s5, s5, s12
	s_cmp_ge_i32 s5, s6
	s_cbranch_scc1 .LBB43_2
; %bb.4:                                ;   in Loop: Header=BB43_3 Depth=1
	s_and_saveexec_b64 s[26:27], s[0:1]
	s_cbranch_execz .LBB43_7
; %bb.5:                                ;   in Loop: Header=BB43_3 Depth=1
	s_add_i32 s28, s5, s33
	s_ashr_i32 s29, s28, 31
	s_lshl_b64 s[28:29], s[28:29], 2
	s_add_u32 s28, s8, s28
	s_addc_u32 s29, s9, s29
	global_load_dword v2, v8, s[28:29] glc
	s_waitcnt vmcnt(0)
	v_cmp_ne_u32_e32 vcc, 0, v2
	s_cbranch_vccnz .LBB43_7
.LBB43_6:                               ;   Parent Loop BB43_3 Depth=1
                                        ; =>  This Inner Loop Header: Depth=2
	global_load_dword v2, v8, s[28:29] glc
	s_waitcnt vmcnt(0)
	v_cmp_eq_u32_e32 vcc, 0, v2
	s_cbranch_vccnz .LBB43_6
.LBB43_7:                               ;   in Loop: Header=BB43_3 Depth=1
	s_or_b64 exec, exec, s[26:27]
	buffer_wbinvl1_vol
	s_barrier
	s_and_saveexec_b64 s[26:27], s[2:3]
	s_cbranch_execz .LBB43_16
; %bb.8:                                ;   in Loop: Header=BB43_3 Depth=1
	s_mul_i32 s28, s38, s5
	s_mul_i32 s40, s4, s34
	v_add_u32_e32 v9, s28, v1
	s_mov_b64 s[28:29], 0
	v_mov_b32_e32 v10, v7
	v_mov_b32_e32 v11, v5
	s_branch .LBB43_10
.LBB43_9:                               ;   in Loop: Header=BB43_10 Depth=2
	v_add_u32_e32 v2, s7, v11
	v_mad_u64_u32 v[2:3], s[30:31], v2, s35, v[1:2]
	v_mov_b32_e32 v4, s23
	v_add_u32_e32 v11, 16, v11
	v_ashrrev_i32_e32 v3, 31, v2
	v_lshlrev_b64 v[2:3], 3, v[2:3]
	v_add_u32_e32 v10, s39, v10
	v_add_co_u32_e32 v2, vcc, s22, v2
	v_addc_co_u32_e32 v3, vcc, v4, v3, vcc
	global_load_dwordx2 v[14:15], v[2:3], off
	v_cmp_le_i32_e32 vcc, s34, v11
	s_or_b64 s[28:29], vcc, s[28:29]
	s_waitcnt vmcnt(0)
	v_sub_f32_e32 v13, v14, v13
	v_sub_f32_e32 v14, v15, v12
	global_store_dwordx2 v[2:3], v[13:14], off
	s_andn2_b64 exec, exec, s[28:29]
	s_cbranch_execz .LBB43_16
.LBB43_10:                              ;   Parent Loop BB43_3 Depth=1
                                        ; =>  This Loop Header: Depth=2
                                        ;       Child Loop BB43_12 Depth 3
	v_mov_b32_e32 v12, 0
	s_mov_b32 s41, 0
	v_mov_b32_e32 v2, v9
	v_mov_b32_e32 v13, 0
	s_branch .LBB43_12
.LBB43_11:                              ;   in Loop: Header=BB43_12 Depth=3
	v_ashrrev_i32_e32 v4, 31, v3
	v_lshlrev_b64 v[3:4], 3, v[3:4]
	v_mov_b32_e32 v14, s11
	v_add_co_u32_e32 v3, vcc, s10, v3
	v_addc_co_u32_e32 v4, vcc, v14, v4, vcc
	global_load_dwordx2 v[14:15], v[3:4], off
	v_ashrrev_i32_e32 v3, 31, v2
	v_lshlrev_b64 v[3:4], 3, v[2:3]
	v_mov_b32_e32 v16, s23
	v_add_co_u32_e32 v3, vcc, s22, v3
	v_addc_co_u32_e32 v4, vcc, v16, v4, vcc
	global_load_dwordx2 v[3:4], v[3:4], off
	s_add_i32 s41, s41, 1
	s_cmp_eq_u32 s34, s41
	v_add_u32_e32 v2, s35, v2
	s_waitcnt vmcnt(0)
	v_fmac_f32_e32 v13, v14, v3
	v_fmac_f32_e32 v12, v15, v3
	v_fma_f32 v13, -v15, v4, v13
	v_fmac_f32_e32 v12, v14, v4
	s_cbranch_scc1 .LBB43_9
.LBB43_12:                              ;   Parent Loop BB43_3 Depth=1
                                        ;     Parent Loop BB43_10 Depth=2
                                        ; =>    This Inner Loop Header: Depth=3
	s_and_b64 vcc, exec, s[16:17]
	s_cbranch_vccz .LBB43_14
; %bb.13:                               ;   in Loop: Header=BB43_12 Depth=3
	s_add_i32 s30, s41, s40
	s_mul_i32 s30, s30, s34
	v_add_u32_e32 v3, s30, v11
	s_cbranch_execnz .LBB43_11
	s_branch .LBB43_15
.LBB43_14:                              ;   in Loop: Header=BB43_12 Depth=3
                                        ; implicit-def: $vgpr3
.LBB43_15:                              ;   in Loop: Header=BB43_12 Depth=3
	v_add_u32_e32 v3, s41, v10
	s_branch .LBB43_11
.LBB43_16:                              ;   in Loop: Header=BB43_3 Depth=1
	s_or_b64 exec, exec, s[26:27]
	s_add_i32 s4, s4, 1
	s_cmp_ge_i32 s4, s15
	v_add_u32_e32 v7, s37, v7
	s_cselect_b64 s[26:27], -1, 0
	s_and_b64 vcc, exec, s[26:27]
	s_cbranch_vccz .LBB43_3
	s_branch .LBB43_18
.LBB43_17:
	s_mov_b32 s5, s24
.LBB43_18:
	s_cmp_lt_i32 s6, s24
	s_cselect_b64 s[16:17], -1, 0
	s_cmp_eq_u32 s6, s5
	s_cselect_b64 s[0:1], -1, 0
	v_cmp_gt_i32_e32 vcc, s25, v1
	s_and_b64 s[0:1], vcc, s[0:1]
	s_cmp_gt_i32 s34, 0
	s_cselect_b64 s[2:3], -1, 0
	s_and_b64 s[0:1], s[0:1], s[2:3]
	s_mov_b32 s28, 0
	s_and_b64 s[2:3], s[0:1], s[16:17]
	s_mov_b64 s[0:1], 0
	s_and_saveexec_b64 s[18:19], s[2:3]
	s_cbranch_execz .LBB43_33
; %bb.19:
	v_add_u32_e32 v2, s7, v5
	v_mul_lo_u32 v2, s35, v2
	s_cmp_eq_u32 s13, 0
	s_cselect_b64 s[0:1], -1, 0
	s_cmp_lg_u32 s14, 0
	v_add_u32_e32 v2, s35, v2
	v_add3_u32 v9, v6, v2, s36
	v_cndmask_b32_e64 v2, 0, 1, s[0:1]
	s_cselect_b64 s[14:15], -1, 0
	v_add_u32_e32 v8, 1, v5
	s_mul_i32 s13, s4, s34
	s_lshl_b32 s29, s35, 4
	s_mul_i32 s30, s4, s37
	s_add_i32 s31, s34, 1
	s_mov_b64 s[4:5], 0
	v_cmp_ne_u32_e64 s[0:1], 1, v2
	v_mov_b32_e32 v10, 0
	v_mov_b32_e32 v11, s23
	v_mov_b32_e32 v4, 1.0
	s_and_b64 vcc, exec, s[0:1]
	v_mov_b32_e32 v5, 0
	s_cbranch_vccnz .LBB43_21
.LBB43_20:
	s_add_i32 s2, s28, s13
	s_mul_i32 s2, s2, s34
	s_add_i32 s2, s2, s28
	s_ashr_i32 s3, s2, 31
	s_lshl_b64 s[2:3], s[2:3], 3
	s_add_u32 s2, s10, s2
	s_addc_u32 s3, s11, s3
	global_load_dwordx2 v[4:5], v10, s[2:3]
.LBB43_21:                              ; =>This Loop Header: Depth=1
                                        ;     Child Loop BB43_26 Depth 2
	s_add_i32 s2, s28, s7
	s_mul_i32 s2, s2, s35
	s_waitcnt vmcnt(0)
	v_add_u32_e32 v2, s2, v1
	v_ashrrev_i32_e32 v3, 31, v2
	v_lshlrev_b64 v[2:3], 3, v[2:3]
	s_waitcnt vmcnt(0)
	v_cmp_eq_f32_e64 s[2:3], 0, v5
	v_add_co_u32_e32 v6, vcc, s22, v2
	v_addc_co_u32_e32 v7, vcc, v11, v3, vcc
	global_load_dwordx2 v[2:3], v[6:7], off
	v_cmp_eq_f32_e32 vcc, 0, v4
	s_and_b64 s[24:25], vcc, s[2:3]
	s_mov_b64 s[2:3], -1
	s_and_b64 vcc, exec, s[24:25]
	s_cbranch_vccnz .LBB43_23
; %bb.22:                               ;   in Loop: Header=BB43_21 Depth=1
	v_mul_f32_e32 v12, v5, v5
	v_fmac_f32_e32 v12, v4, v4
	v_div_scale_f32 v13, s[2:3], v12, v12, 1.0
	v_div_scale_f32 v14, vcc, 1.0, v12, 1.0
	s_mov_b64 s[2:3], s[4:5]
	v_rcp_f32_e32 v15, v13
	v_fma_f32 v16, -v13, v15, 1.0
	v_fmac_f32_e32 v15, v16, v15
	v_mul_f32_e32 v16, v14, v15
	v_fma_f32 v17, -v13, v16, v14
	v_fmac_f32_e32 v16, v17, v15
	v_fma_f32 v13, -v13, v16, v14
	v_div_fmas_f32 v13, v13, v15, v16
	s_waitcnt vmcnt(0)
	v_mul_f32_e32 v14, v5, v3
	v_mul_f32_e64 v5, v5, -v2
	v_fmac_f32_e32 v14, v2, v4
	v_fmac_f32_e32 v5, v3, v4
	v_div_fixup_f32 v3, v13, v12, 1.0
	v_mul_f32_e32 v2, v3, v14
	v_mul_f32_e32 v3, v3, v5
	global_store_dwordx2 v[6:7], v[2:3], off
.LBB43_23:                              ;   in Loop: Header=BB43_21 Depth=1
	v_add_u32_e32 v7, s28, v8
	v_cmp_gt_i32_e32 vcc, s34, v7
	s_and_saveexec_b64 s[4:5], vcc
	s_cbranch_execz .LBB43_30
; %bb.24:                               ;   in Loop: Header=BB43_21 Depth=1
	s_mov_b64 s[24:25], 0
	v_mov_b32_e32 v4, v9
	v_mov_b32_e32 v12, v8
	s_branch .LBB43_26
.LBB43_25:                              ;   in Loop: Header=BB43_26 Depth=2
	v_ashrrev_i32_e32 v6, 31, v5
	v_lshlrev_b64 v[5:6], 3, v[5:6]
	v_mov_b32_e32 v13, s11
	v_add_co_u32_e32 v5, vcc, s10, v5
	v_addc_co_u32_e32 v6, vcc, v13, v6, vcc
	global_load_dwordx2 v[13:14], v[5:6], off
	v_ashrrev_i32_e32 v5, 31, v4
	v_lshlrev_b64 v[5:6], 3, v[4:5]
	v_mov_b32_e32 v15, s23
	v_add_co_u32_e32 v5, vcc, s22, v5
	v_addc_co_u32_e32 v6, vcc, v15, v6, vcc
	global_load_dwordx2 v[15:16], v[5:6], off
	v_add_u32_e32 v12, 16, v12
	v_add_u32_e32 v17, s28, v12
	v_cmp_le_i32_e32 vcc, s34, v17
	v_add_u32_e32 v7, 16, v7
	s_or_b64 s[24:25], vcc, s[24:25]
	v_add_u32_e32 v4, s29, v4
	s_waitcnt vmcnt(1)
	v_mul_f32_e64 v17, v14, -v3
	v_mul_f32_e32 v14, v2, v14
	v_fmac_f32_e32 v17, v2, v13
	v_fmac_f32_e32 v14, v3, v13
	s_waitcnt vmcnt(0)
	v_sub_f32_e32 v13, v15, v17
	v_sub_f32_e32 v14, v16, v14
	global_store_dwordx2 v[5:6], v[13:14], off
	s_andn2_b64 exec, exec, s[24:25]
	s_cbranch_execz .LBB43_30
.LBB43_26:                              ;   Parent Loop BB43_21 Depth=1
                                        ; =>  This Inner Loop Header: Depth=2
	s_and_b64 vcc, exec, s[14:15]
	s_cbranch_vccz .LBB43_28
; %bb.27:                               ;   in Loop: Header=BB43_26 Depth=2
	v_add_u32_e32 v5, s30, v12
	s_cbranch_execnz .LBB43_25
	s_branch .LBB43_29
.LBB43_28:                              ;   in Loop: Header=BB43_26 Depth=2
                                        ; implicit-def: $vgpr5
.LBB43_29:                              ;   in Loop: Header=BB43_26 Depth=2
	v_add_u32_e32 v5, s13, v7
	v_mul_lo_u32 v5, v5, s34
	v_add_u32_e32 v5, s28, v5
	s_branch .LBB43_25
.LBB43_30:                              ;   in Loop: Header=BB43_21 Depth=1
	s_or_b64 exec, exec, s[4:5]
	s_add_i32 s28, s28, 1
	s_add_i32 s30, s30, s31
	s_cmp_eq_u32 s28, s34
	v_add_u32_e32 v9, s35, v9
	s_cbranch_scc1 .LBB43_32
; %bb.31:                               ;   in Loop: Header=BB43_21 Depth=1
	s_mov_b64 s[4:5], s[2:3]
	v_mov_b32_e32 v4, 1.0
	s_and_b64 vcc, exec, s[0:1]
	v_mov_b32_e32 v5, 0
	s_cbranch_vccnz .LBB43_21
	s_branch .LBB43_20
.LBB43_32:
	s_and_b64 s[0:1], s[2:3], exec
.LBB43_33:
	s_or_b64 exec, exec, s[18:19]
	v_cmp_eq_u32_e32 vcc, 0, v0
	s_and_b64 s[2:3], vcc, s[16:17]
	s_waitcnt vmcnt(0)
	buffer_wbinvl1_vol
	s_barrier
	s_and_saveexec_b64 s[4:5], s[2:3]
	s_cbranch_execz .LBB43_37
; %bb.34:
	s_add_i32 s2, s6, s33
	s_ashr_i32 s3, s2, 31
	s_lshl_b64 s[2:3], s[2:3], 2
	s_add_u32 s2, s8, s2
	s_addc_u32 s3, s9, s3
	v_mov_b32_e32 v0, 0
	v_mov_b32_e32 v1, 1
	global_store_dword v0, v1, s[2:3]
	s_and_b64 exec, exec, s[0:1]
	s_cbranch_execz .LBB43_37
; %bb.35:
	v_mbcnt_lo_u32_b32 v0, exec_lo, 0
	v_mbcnt_hi_u32_b32 v0, exec_hi, v0
	v_cmp_eq_u32_e32 vcc, 0, v0
	s_and_b64 exec, exec, vcc
	s_cbranch_execz .LBB43_37
; %bb.36:
	s_add_i32 s0, s6, s12
	v_mov_b32_e32 v0, 0
	v_mov_b32_e32 v1, s0
	global_atomic_smin v0, v1, s[20:21]
.LBB43_37:
	s_endpgm
	.section	.rodata,"a",@progbits
	.p2align	6, 0x0
	.amdhsa_kernel _ZN9rocsparseL24bsrsm_lower_large_kernelILj256ELj16ELb0E21rocsparse_complex_numIfEEEviiPKiS4_PKT2_iPS5_iPiS4_S9_21rocsparse_index_base_20rocsparse_diag_type_20rocsparse_direction_
		.amdhsa_group_segment_fixed_size 0
		.amdhsa_private_segment_fixed_size 0
		.amdhsa_kernarg_size 92
		.amdhsa_user_sgpr_count 6
		.amdhsa_user_sgpr_private_segment_buffer 1
		.amdhsa_user_sgpr_dispatch_ptr 0
		.amdhsa_user_sgpr_queue_ptr 0
		.amdhsa_user_sgpr_kernarg_segment_ptr 1
		.amdhsa_user_sgpr_dispatch_id 0
		.amdhsa_user_sgpr_flat_scratch_init 0
		.amdhsa_user_sgpr_private_segment_size 0
		.amdhsa_uses_dynamic_stack 0
		.amdhsa_system_sgpr_private_segment_wavefront_offset 0
		.amdhsa_system_sgpr_workgroup_id_x 1
		.amdhsa_system_sgpr_workgroup_id_y 0
		.amdhsa_system_sgpr_workgroup_id_z 0
		.amdhsa_system_sgpr_workgroup_info 0
		.amdhsa_system_vgpr_workitem_id 0
		.amdhsa_next_free_vgpr 18
		.amdhsa_next_free_sgpr 42
		.amdhsa_reserve_vcc 1
		.amdhsa_reserve_flat_scratch 0
		.amdhsa_float_round_mode_32 0
		.amdhsa_float_round_mode_16_64 0
		.amdhsa_float_denorm_mode_32 3
		.amdhsa_float_denorm_mode_16_64 3
		.amdhsa_dx10_clamp 1
		.amdhsa_ieee_mode 1
		.amdhsa_fp16_overflow 0
		.amdhsa_exception_fp_ieee_invalid_op 0
		.amdhsa_exception_fp_denorm_src 0
		.amdhsa_exception_fp_ieee_div_zero 0
		.amdhsa_exception_fp_ieee_overflow 0
		.amdhsa_exception_fp_ieee_underflow 0
		.amdhsa_exception_fp_ieee_inexact 0
		.amdhsa_exception_int_div_zero 0
	.end_amdhsa_kernel
	.section	.text._ZN9rocsparseL24bsrsm_lower_large_kernelILj256ELj16ELb0E21rocsparse_complex_numIfEEEviiPKiS4_PKT2_iPS5_iPiS4_S9_21rocsparse_index_base_20rocsparse_diag_type_20rocsparse_direction_,"axG",@progbits,_ZN9rocsparseL24bsrsm_lower_large_kernelILj256ELj16ELb0E21rocsparse_complex_numIfEEEviiPKiS4_PKT2_iPS5_iPiS4_S9_21rocsparse_index_base_20rocsparse_diag_type_20rocsparse_direction_,comdat
.Lfunc_end43:
	.size	_ZN9rocsparseL24bsrsm_lower_large_kernelILj256ELj16ELb0E21rocsparse_complex_numIfEEEviiPKiS4_PKT2_iPS5_iPiS4_S9_21rocsparse_index_base_20rocsparse_diag_type_20rocsparse_direction_, .Lfunc_end43-_ZN9rocsparseL24bsrsm_lower_large_kernelILj256ELj16ELb0E21rocsparse_complex_numIfEEEviiPKiS4_PKT2_iPS5_iPiS4_S9_21rocsparse_index_base_20rocsparse_diag_type_20rocsparse_direction_
                                        ; -- End function
	.set _ZN9rocsparseL24bsrsm_lower_large_kernelILj256ELj16ELb0E21rocsparse_complex_numIfEEEviiPKiS4_PKT2_iPS5_iPiS4_S9_21rocsparse_index_base_20rocsparse_diag_type_20rocsparse_direction_.num_vgpr, 18
	.set _ZN9rocsparseL24bsrsm_lower_large_kernelILj256ELj16ELb0E21rocsparse_complex_numIfEEEviiPKiS4_PKT2_iPS5_iPiS4_S9_21rocsparse_index_base_20rocsparse_diag_type_20rocsparse_direction_.num_agpr, 0
	.set _ZN9rocsparseL24bsrsm_lower_large_kernelILj256ELj16ELb0E21rocsparse_complex_numIfEEEviiPKiS4_PKT2_iPS5_iPiS4_S9_21rocsparse_index_base_20rocsparse_diag_type_20rocsparse_direction_.numbered_sgpr, 42
	.set _ZN9rocsparseL24bsrsm_lower_large_kernelILj256ELj16ELb0E21rocsparse_complex_numIfEEEviiPKiS4_PKT2_iPS5_iPiS4_S9_21rocsparse_index_base_20rocsparse_diag_type_20rocsparse_direction_.num_named_barrier, 0
	.set _ZN9rocsparseL24bsrsm_lower_large_kernelILj256ELj16ELb0E21rocsparse_complex_numIfEEEviiPKiS4_PKT2_iPS5_iPiS4_S9_21rocsparse_index_base_20rocsparse_diag_type_20rocsparse_direction_.private_seg_size, 0
	.set _ZN9rocsparseL24bsrsm_lower_large_kernelILj256ELj16ELb0E21rocsparse_complex_numIfEEEviiPKiS4_PKT2_iPS5_iPiS4_S9_21rocsparse_index_base_20rocsparse_diag_type_20rocsparse_direction_.uses_vcc, 1
	.set _ZN9rocsparseL24bsrsm_lower_large_kernelILj256ELj16ELb0E21rocsparse_complex_numIfEEEviiPKiS4_PKT2_iPS5_iPiS4_S9_21rocsparse_index_base_20rocsparse_diag_type_20rocsparse_direction_.uses_flat_scratch, 0
	.set _ZN9rocsparseL24bsrsm_lower_large_kernelILj256ELj16ELb0E21rocsparse_complex_numIfEEEviiPKiS4_PKT2_iPS5_iPiS4_S9_21rocsparse_index_base_20rocsparse_diag_type_20rocsparse_direction_.has_dyn_sized_stack, 0
	.set _ZN9rocsparseL24bsrsm_lower_large_kernelILj256ELj16ELb0E21rocsparse_complex_numIfEEEviiPKiS4_PKT2_iPS5_iPiS4_S9_21rocsparse_index_base_20rocsparse_diag_type_20rocsparse_direction_.has_recursion, 0
	.set _ZN9rocsparseL24bsrsm_lower_large_kernelILj256ELj16ELb0E21rocsparse_complex_numIfEEEviiPKiS4_PKT2_iPS5_iPiS4_S9_21rocsparse_index_base_20rocsparse_diag_type_20rocsparse_direction_.has_indirect_call, 0
	.section	.AMDGPU.csdata,"",@progbits
; Kernel info:
; codeLenInByte = 1580
; TotalNumSgprs: 46
; NumVgprs: 18
; ScratchSize: 0
; MemoryBound: 0
; FloatMode: 240
; IeeeMode: 1
; LDSByteSize: 0 bytes/workgroup (compile time only)
; SGPRBlocks: 5
; VGPRBlocks: 4
; NumSGPRsForWavesPerEU: 46
; NumVGPRsForWavesPerEU: 18
; Occupancy: 10
; WaveLimiterHint : 1
; COMPUTE_PGM_RSRC2:SCRATCH_EN: 0
; COMPUTE_PGM_RSRC2:USER_SGPR: 6
; COMPUTE_PGM_RSRC2:TRAP_HANDLER: 0
; COMPUTE_PGM_RSRC2:TGID_X_EN: 1
; COMPUTE_PGM_RSRC2:TGID_Y_EN: 0
; COMPUTE_PGM_RSRC2:TGID_Z_EN: 0
; COMPUTE_PGM_RSRC2:TIDIG_COMP_CNT: 0
	.section	.text._ZN9rocsparseL24bsrsm_upper_large_kernelILj512ELj16ELb0E21rocsparse_complex_numIfEEEviiPKiS4_PKT2_iPS5_iPiS4_S9_21rocsparse_index_base_20rocsparse_diag_type_20rocsparse_direction_,"axG",@progbits,_ZN9rocsparseL24bsrsm_upper_large_kernelILj512ELj16ELb0E21rocsparse_complex_numIfEEEviiPKiS4_PKT2_iPS5_iPiS4_S9_21rocsparse_index_base_20rocsparse_diag_type_20rocsparse_direction_,comdat
	.globl	_ZN9rocsparseL24bsrsm_upper_large_kernelILj512ELj16ELb0E21rocsparse_complex_numIfEEEviiPKiS4_PKT2_iPS5_iPiS4_S9_21rocsparse_index_base_20rocsparse_diag_type_20rocsparse_direction_ ; -- Begin function _ZN9rocsparseL24bsrsm_upper_large_kernelILj512ELj16ELb0E21rocsparse_complex_numIfEEEviiPKiS4_PKT2_iPS5_iPiS4_S9_21rocsparse_index_base_20rocsparse_diag_type_20rocsparse_direction_
	.p2align	8
	.type	_ZN9rocsparseL24bsrsm_upper_large_kernelILj512ELj16ELb0E21rocsparse_complex_numIfEEEviiPKiS4_PKT2_iPS5_iPiS4_S9_21rocsparse_index_base_20rocsparse_diag_type_20rocsparse_direction_,@function
_ZN9rocsparseL24bsrsm_upper_large_kernelILj512ELj16ELb0E21rocsparse_complex_numIfEEEviiPKiS4_PKT2_iPS5_iPiS4_S9_21rocsparse_index_base_20rocsparse_diag_type_20rocsparse_direction_: ; @_ZN9rocsparseL24bsrsm_upper_large_kernelILj512ELj16ELb0E21rocsparse_complex_numIfEEEviiPKiS4_PKT2_iPS5_iPiS4_S9_21rocsparse_index_base_20rocsparse_diag_type_20rocsparse_direction_
; %bb.0:
	s_load_dwordx2 s[24:25], s[4:5], 0x0
	s_load_dwordx4 s[16:19], s[4:5], 0x8
	s_load_dwordx4 s[8:11], s[4:5], 0x38
	s_load_dwordx2 s[20:21], s[4:5], 0x48
	v_lshrrev_b32_e32 v5, 5, v0
	v_and_b32_e32 v8, 31, v0
	s_waitcnt lgkmcnt(0)
	v_cvt_f32_u32_e32 v1, s24
	s_sub_i32 s0, 0, s24
	v_rcp_iflag_f32_e32 v1, v1
	v_mul_f32_e32 v1, 0x4f7ffffe, v1
	v_cvt_u32_f32_e32 v1, v1
	v_readfirstlane_b32 s1, v1
	s_mul_i32 s0, s0, s1
	s_mul_hi_u32 s0, s1, s0
	s_add_i32 s1, s1, s0
	s_mul_hi_u32 s0, s6, s1
	s_mul_i32 s1, s0, s24
	s_sub_i32 s1, s6, s1
	s_add_i32 s2, s0, 1
	s_sub_i32 s3, s1, s24
	s_cmp_ge_u32 s1, s24
	s_cselect_b32 s0, s2, s0
	s_cselect_b32 s1, s3, s1
	s_add_i32 s2, s0, 1
	s_cmp_ge_u32 s1, s24
	s_cselect_b32 s26, s2, s0
	s_mul_i32 s33, s26, s24
	s_sub_i32 s0, s6, s33
	s_ashr_i32 s1, s0, 31
	s_lshl_b64 s[0:1], s[0:1], 2
	s_add_u32 s0, s10, s0
	s_addc_u32 s1, s11, s1
	s_load_dword s6, s[0:1], 0x0
	s_load_dwordx2 s[10:11], s[4:5], 0x18
	s_load_dword s34, s[4:5], 0x20
	s_load_dwordx2 s[22:23], s[4:5], 0x28
	s_load_dword s35, s[4:5], 0x30
	s_load_dwordx4 s[12:15], s[4:5], 0x50
	s_waitcnt lgkmcnt(0)
	s_ashr_i32 s7, s6, 31
	s_lshl_b64 s[0:1], s[6:7], 2
	s_add_u32 s0, s16, s0
	s_addc_u32 s1, s17, s1
	s_load_dwordx2 s[2:3], s[0:1], 0x0
	s_lshl_b32 s36, s26, 4
	s_not_b32 s0, s12
	v_or_b32_e32 v1, s36, v5
	v_cmp_gt_i32_e32 vcc, s25, v1
	s_waitcnt lgkmcnt(0)
	s_sub_i32 s15, s2, s12
	s_add_i32 s4, s3, s0
	s_cmp_lt_i32 s4, s15
	s_mul_i32 s7, s6, s34
	v_cmp_eq_u32_e64 s[0:1], 0, v0
	s_cbranch_scc1 .LBB44_17
; %bb.1:
	s_mul_i32 s5, s34, s4
	v_add_u32_e32 v2, s5, v8
	v_mul_lo_u32 v6, s34, v2
	v_cmp_gt_i32_e64 s[2:3], s34, v8
	s_cmp_lg_u32 s14, 0
	s_cselect_b64 s[16:17], -1, 0
	s_and_b64 s[2:3], vcc, s[2:3]
	s_mul_i32 s37, s35, s34
	s_mul_i32 s38, s34, s34
	s_lshl_b32 s39, s34, 5
	v_mov_b32_e32 v7, 0
	s_branch .LBB44_3
.LBB44_2:                               ;   in Loop: Header=BB44_3 Depth=1
                                        ; implicit-def: $vgpr6
	s_and_b64 vcc, exec, s[26:27]
	s_cbranch_vccnz .LBB44_18
.LBB44_3:                               ; =>This Loop Header: Depth=1
                                        ;     Child Loop BB44_6 Depth 2
                                        ;     Child Loop BB44_10 Depth 2
                                        ;       Child Loop BB44_12 Depth 3
	s_ashr_i32 s5, s4, 31
	s_lshl_b64 s[26:27], s[4:5], 2
	s_add_u32 s26, s18, s26
	s_addc_u32 s27, s19, s27
	global_load_dword v2, v7, s[26:27]
	s_mov_b64 s[26:27], -1
	s_waitcnt vmcnt(0)
	v_readfirstlane_b32 s5, v2
	s_sub_i32 s5, s5, s12
	s_cmp_le_i32 s5, s6
	s_cbranch_scc1 .LBB44_2
; %bb.4:                                ;   in Loop: Header=BB44_3 Depth=1
	s_and_saveexec_b64 s[26:27], s[0:1]
	s_cbranch_execz .LBB44_7
; %bb.5:                                ;   in Loop: Header=BB44_3 Depth=1
	s_add_i32 s28, s5, s33
	s_ashr_i32 s29, s28, 31
	s_lshl_b64 s[28:29], s[28:29], 2
	s_add_u32 s28, s8, s28
	s_addc_u32 s29, s9, s29
	global_load_dword v2, v7, s[28:29] glc
	s_waitcnt vmcnt(0)
	v_cmp_ne_u32_e32 vcc, 0, v2
	s_cbranch_vccnz .LBB44_7
.LBB44_6:                               ;   Parent Loop BB44_3 Depth=1
                                        ; =>  This Inner Loop Header: Depth=2
	global_load_dword v2, v7, s[28:29] glc
	s_waitcnt vmcnt(0)
	v_cmp_eq_u32_e32 vcc, 0, v2
	s_cbranch_vccnz .LBB44_6
.LBB44_7:                               ;   in Loop: Header=BB44_3 Depth=1
	s_or_b64 exec, exec, s[26:27]
	buffer_wbinvl1_vol
	s_barrier
	s_and_saveexec_b64 s[26:27], s[2:3]
	s_cbranch_execz .LBB44_16
; %bb.8:                                ;   in Loop: Header=BB44_3 Depth=1
	s_mul_i32 s28, s37, s5
	s_mul_i32 s40, s4, s34
	v_add_u32_e32 v9, s28, v1
	s_mov_b64 s[28:29], 0
	v_mov_b32_e32 v10, v6
	v_mov_b32_e32 v11, v8
	s_branch .LBB44_10
.LBB44_9:                               ;   in Loop: Header=BB44_10 Depth=2
	v_add_u32_e32 v2, s7, v11
	v_mad_u64_u32 v[2:3], s[30:31], v2, s35, v[1:2]
	v_mov_b32_e32 v4, s23
	v_add_u32_e32 v11, 32, v11
	v_ashrrev_i32_e32 v3, 31, v2
	v_lshlrev_b64 v[2:3], 3, v[2:3]
	v_add_u32_e32 v10, s39, v10
	v_add_co_u32_e32 v2, vcc, s22, v2
	v_addc_co_u32_e32 v3, vcc, v4, v3, vcc
	global_load_dwordx2 v[14:15], v[2:3], off
	v_cmp_le_i32_e32 vcc, s34, v11
	s_or_b64 s[28:29], vcc, s[28:29]
	s_waitcnt vmcnt(0)
	v_sub_f32_e32 v13, v14, v13
	v_sub_f32_e32 v14, v15, v12
	global_store_dwordx2 v[2:3], v[13:14], off
	s_andn2_b64 exec, exec, s[28:29]
	s_cbranch_execz .LBB44_16
.LBB44_10:                              ;   Parent Loop BB44_3 Depth=1
                                        ; =>  This Loop Header: Depth=2
                                        ;       Child Loop BB44_12 Depth 3
	v_mov_b32_e32 v12, 0
	s_mov_b32 s41, 0
	v_mov_b32_e32 v2, v9
	v_mov_b32_e32 v13, 0
	s_branch .LBB44_12
.LBB44_11:                              ;   in Loop: Header=BB44_12 Depth=3
	v_ashrrev_i32_e32 v4, 31, v3
	v_lshlrev_b64 v[3:4], 3, v[3:4]
	v_mov_b32_e32 v14, s11
	v_add_co_u32_e32 v3, vcc, s10, v3
	v_addc_co_u32_e32 v4, vcc, v14, v4, vcc
	global_load_dwordx2 v[14:15], v[3:4], off
	v_ashrrev_i32_e32 v3, 31, v2
	v_lshlrev_b64 v[3:4], 3, v[2:3]
	v_mov_b32_e32 v16, s23
	v_add_co_u32_e32 v3, vcc, s22, v3
	v_addc_co_u32_e32 v4, vcc, v16, v4, vcc
	global_load_dwordx2 v[3:4], v[3:4], off
	s_add_i32 s41, s41, 1
	s_cmp_eq_u32 s34, s41
	v_add_u32_e32 v2, s35, v2
	s_waitcnt vmcnt(0)
	v_fmac_f32_e32 v13, v14, v3
	v_fmac_f32_e32 v12, v15, v3
	v_fma_f32 v13, -v15, v4, v13
	v_fmac_f32_e32 v12, v14, v4
	s_cbranch_scc1 .LBB44_9
.LBB44_12:                              ;   Parent Loop BB44_3 Depth=1
                                        ;     Parent Loop BB44_10 Depth=2
                                        ; =>    This Inner Loop Header: Depth=3
	s_and_b64 vcc, exec, s[16:17]
	s_cbranch_vccz .LBB44_14
; %bb.13:                               ;   in Loop: Header=BB44_12 Depth=3
	s_add_i32 s30, s41, s40
	s_mul_i32 s30, s30, s34
	v_add_u32_e32 v3, s30, v11
	s_cbranch_execnz .LBB44_11
	s_branch .LBB44_15
.LBB44_14:                              ;   in Loop: Header=BB44_12 Depth=3
                                        ; implicit-def: $vgpr3
.LBB44_15:                              ;   in Loop: Header=BB44_12 Depth=3
	v_add_u32_e32 v3, s41, v10
	s_branch .LBB44_11
.LBB44_16:                              ;   in Loop: Header=BB44_3 Depth=1
	s_or_b64 exec, exec, s[26:27]
	s_add_i32 s28, s4, -1
	s_cmp_le_i32 s4, s15
	v_subrev_u32_e32 v6, s38, v6
	s_cselect_b64 s[26:27], -1, 0
	s_mov_b32 s4, s28
	s_and_b64 vcc, exec, s[26:27]
	s_cbranch_vccz .LBB44_3
	s_branch .LBB44_18
.LBB44_17:
	s_mov_b32 s5, s24
.LBB44_18:
	s_cmp_lt_i32 s6, s24
	s_cselect_b64 s[16:17], -1, 0
	s_cmp_eq_u32 s6, s5
	s_cselect_b64 s[0:1], -1, 0
	v_cmp_gt_i32_e32 vcc, s25, v1
	s_and_b64 s[0:1], vcc, s[0:1]
	s_cmp_gt_i32 s34, 0
	s_cselect_b64 s[2:3], -1, 0
	s_and_b64 s[0:1], s[0:1], s[2:3]
	s_and_b64 s[2:3], s[0:1], s[16:17]
	s_mov_b64 s[0:1], 0
	s_and_saveexec_b64 s[18:19], s[2:3]
	s_cbranch_execz .LBB44_35
; %bb.19:
	v_add_u32_e32 v2, s7, v8
	s_cmp_eq_u32 s13, 0
	v_mul_lo_u32 v2, s35, v2
	s_cselect_b64 s[0:1], -1, 0
	s_cmp_lg_u32 s14, 0
	s_cselect_b64 s[14:15], -1, 0
	s_add_i32 s2, s4, 1
	s_mul_i32 s2, s34, s2
	v_add3_u32 v9, v5, v2, s36
	s_add_i32 s2, s2, -1
	v_cndmask_b32_e64 v2, 0, 1, s[0:1]
	s_mul_i32 s13, s4, s34
	s_lshl_b32 s28, s35, 5
	s_mul_i32 s29, s34, s2
	s_mov_b64 s[4:5], 0
	v_cmp_ne_u32_e64 s[0:1], 1, v2
	v_mov_b32_e32 v10, 0
	v_mov_b32_e32 v11, s23
	s_mov_b32 s30, s34
.LBB44_20:                              ; =>This Loop Header: Depth=1
                                        ;     Child Loop BB44_27 Depth 2
	s_add_i32 s31, s30, -1
	v_mov_b32_e32 v4, 1.0
	s_and_b64 vcc, exec, s[0:1]
	v_mov_b32_e32 v5, 0
	s_cbranch_vccnz .LBB44_22
; %bb.21:                               ;   in Loop: Header=BB44_20 Depth=1
	s_add_i32 s2, s31, s13
	s_mul_i32 s2, s2, s34
	s_add_i32 s2, s2, s31
	s_ashr_i32 s3, s2, 31
	s_lshl_b64 s[2:3], s[2:3], 3
	s_add_u32 s2, s10, s2
	s_addc_u32 s3, s11, s3
	global_load_dwordx2 v[4:5], v10, s[2:3]
.LBB44_22:                              ;   in Loop: Header=BB44_20 Depth=1
	s_add_i32 s2, s31, s7
	s_mul_i32 s2, s2, s35
	s_waitcnt vmcnt(0)
	v_add_u32_e32 v2, s2, v1
	v_ashrrev_i32_e32 v3, 31, v2
	v_lshlrev_b64 v[2:3], 3, v[2:3]
	s_waitcnt vmcnt(0)
	v_cmp_eq_f32_e64 s[2:3], 0, v5
	v_add_co_u32_e32 v6, vcc, s22, v2
	v_addc_co_u32_e32 v7, vcc, v11, v3, vcc
	global_load_dwordx2 v[2:3], v[6:7], off
	v_cmp_eq_f32_e32 vcc, 0, v4
	s_and_b64 s[24:25], vcc, s[2:3]
	s_mov_b64 s[2:3], -1
	s_and_b64 vcc, exec, s[24:25]
	s_cbranch_vccnz .LBB44_24
; %bb.23:                               ;   in Loop: Header=BB44_20 Depth=1
	v_mul_f32_e32 v12, v5, v5
	v_fmac_f32_e32 v12, v4, v4
	v_div_scale_f32 v13, s[2:3], v12, v12, 1.0
	v_div_scale_f32 v14, vcc, 1.0, v12, 1.0
	s_mov_b64 s[2:3], s[4:5]
	v_rcp_f32_e32 v15, v13
	v_fma_f32 v16, -v13, v15, 1.0
	v_fmac_f32_e32 v15, v16, v15
	v_mul_f32_e32 v16, v14, v15
	v_fma_f32 v17, -v13, v16, v14
	v_fmac_f32_e32 v16, v17, v15
	v_fma_f32 v13, -v13, v16, v14
	v_div_fmas_f32 v13, v13, v15, v16
	s_waitcnt vmcnt(0)
	v_mul_f32_e32 v14, v5, v3
	v_mul_f32_e64 v5, v5, -v2
	v_fmac_f32_e32 v14, v2, v4
	v_fmac_f32_e32 v5, v3, v4
	v_div_fixup_f32 v3, v13, v12, 1.0
	v_mul_f32_e32 v2, v3, v14
	v_mul_f32_e32 v3, v3, v5
	global_store_dwordx2 v[6:7], v[2:3], off
.LBB44_24:                              ;   in Loop: Header=BB44_20 Depth=1
	v_cmp_gt_i32_e32 vcc, s31, v8
	s_and_saveexec_b64 s[4:5], vcc
	s_cbranch_execz .LBB44_31
; %bb.25:                               ;   in Loop: Header=BB44_20 Depth=1
	s_mov_b64 s[24:25], 0
	v_mov_b32_e32 v4, v9
	v_mov_b32_e32 v7, v8
	s_branch .LBB44_27
.LBB44_26:                              ;   in Loop: Header=BB44_27 Depth=2
	v_ashrrev_i32_e32 v6, 31, v5
	v_lshlrev_b64 v[5:6], 3, v[5:6]
	v_mov_b32_e32 v12, s11
	v_add_co_u32_e32 v5, vcc, s10, v5
	v_addc_co_u32_e32 v6, vcc, v12, v6, vcc
	global_load_dwordx2 v[12:13], v[5:6], off
	v_ashrrev_i32_e32 v5, 31, v4
	v_lshlrev_b64 v[5:6], 3, v[4:5]
	v_mov_b32_e32 v14, s23
	v_add_co_u32_e32 v5, vcc, s22, v5
	v_addc_co_u32_e32 v6, vcc, v14, v6, vcc
	global_load_dwordx2 v[14:15], v[5:6], off
	v_add_u32_e32 v7, 32, v7
	v_cmp_le_i32_e32 vcc, s31, v7
	s_or_b64 s[24:25], vcc, s[24:25]
	v_add_u32_e32 v4, s28, v4
	s_waitcnt vmcnt(1)
	v_mul_f32_e64 v16, v13, -v3
	v_mul_f32_e32 v13, v2, v13
	v_fmac_f32_e32 v16, v2, v12
	v_fmac_f32_e32 v13, v3, v12
	s_waitcnt vmcnt(0)
	v_sub_f32_e32 v12, v14, v16
	v_sub_f32_e32 v13, v15, v13
	global_store_dwordx2 v[5:6], v[12:13], off
	s_andn2_b64 exec, exec, s[24:25]
	s_cbranch_execz .LBB44_31
.LBB44_27:                              ;   Parent Loop BB44_20 Depth=1
                                        ; =>  This Inner Loop Header: Depth=2
	s_and_b64 vcc, exec, s[14:15]
	s_cbranch_vccz .LBB44_29
; %bb.28:                               ;   in Loop: Header=BB44_27 Depth=2
	v_add_u32_e32 v5, s29, v7
	s_cbranch_execnz .LBB44_26
	s_branch .LBB44_30
.LBB44_29:                              ;   in Loop: Header=BB44_27 Depth=2
                                        ; implicit-def: $vgpr5
.LBB44_30:                              ;   in Loop: Header=BB44_27 Depth=2
	v_add_u32_e32 v5, s13, v7
	v_mul_lo_u32 v5, v5, s34
	v_add_u32_e32 v5, s31, v5
	s_branch .LBB44_26
.LBB44_31:                              ;   in Loop: Header=BB44_20 Depth=1
	s_or_b64 exec, exec, s[4:5]
; %bb.32:                               ;   in Loop: Header=BB44_20 Depth=1
	s_sub_i32 s29, s29, s34
	s_cmp_lt_i32 s30, 2
	s_cbranch_scc1 .LBB44_34
; %bb.33:                               ;   in Loop: Header=BB44_20 Depth=1
	s_mov_b32 s30, s31
	s_mov_b64 s[4:5], s[2:3]
	s_branch .LBB44_20
.LBB44_34:
	s_and_b64 s[0:1], s[2:3], exec
.LBB44_35:
	s_or_b64 exec, exec, s[18:19]
	v_cmp_eq_u32_e32 vcc, 0, v0
	s_and_b64 s[2:3], vcc, s[16:17]
	s_waitcnt vmcnt(0)
	buffer_wbinvl1_vol
	s_barrier
	s_and_saveexec_b64 s[4:5], s[2:3]
	s_cbranch_execz .LBB44_39
; %bb.36:
	s_add_i32 s2, s6, s33
	s_ashr_i32 s3, s2, 31
	s_lshl_b64 s[2:3], s[2:3], 2
	s_add_u32 s2, s8, s2
	s_addc_u32 s3, s9, s3
	v_mov_b32_e32 v0, 0
	v_mov_b32_e32 v1, 1
	global_store_dword v0, v1, s[2:3]
	s_and_b64 exec, exec, s[0:1]
	s_cbranch_execz .LBB44_39
; %bb.37:
	v_mbcnt_lo_u32_b32 v0, exec_lo, 0
	v_mbcnt_hi_u32_b32 v0, exec_hi, v0
	v_cmp_eq_u32_e32 vcc, 0, v0
	s_and_b64 exec, exec, vcc
	s_cbranch_execz .LBB44_39
; %bb.38:
	s_add_i32 s0, s6, s12
	v_mov_b32_e32 v0, 0
	v_mov_b32_e32 v1, s0
	global_atomic_smin v0, v1, s[20:21]
.LBB44_39:
	s_endpgm
	.section	.rodata,"a",@progbits
	.p2align	6, 0x0
	.amdhsa_kernel _ZN9rocsparseL24bsrsm_upper_large_kernelILj512ELj16ELb0E21rocsparse_complex_numIfEEEviiPKiS4_PKT2_iPS5_iPiS4_S9_21rocsparse_index_base_20rocsparse_diag_type_20rocsparse_direction_
		.amdhsa_group_segment_fixed_size 0
		.amdhsa_private_segment_fixed_size 0
		.amdhsa_kernarg_size 92
		.amdhsa_user_sgpr_count 6
		.amdhsa_user_sgpr_private_segment_buffer 1
		.amdhsa_user_sgpr_dispatch_ptr 0
		.amdhsa_user_sgpr_queue_ptr 0
		.amdhsa_user_sgpr_kernarg_segment_ptr 1
		.amdhsa_user_sgpr_dispatch_id 0
		.amdhsa_user_sgpr_flat_scratch_init 0
		.amdhsa_user_sgpr_private_segment_size 0
		.amdhsa_uses_dynamic_stack 0
		.amdhsa_system_sgpr_private_segment_wavefront_offset 0
		.amdhsa_system_sgpr_workgroup_id_x 1
		.amdhsa_system_sgpr_workgroup_id_y 0
		.amdhsa_system_sgpr_workgroup_id_z 0
		.amdhsa_system_sgpr_workgroup_info 0
		.amdhsa_system_vgpr_workitem_id 0
		.amdhsa_next_free_vgpr 18
		.amdhsa_next_free_sgpr 42
		.amdhsa_reserve_vcc 1
		.amdhsa_reserve_flat_scratch 0
		.amdhsa_float_round_mode_32 0
		.amdhsa_float_round_mode_16_64 0
		.amdhsa_float_denorm_mode_32 3
		.amdhsa_float_denorm_mode_16_64 3
		.amdhsa_dx10_clamp 1
		.amdhsa_ieee_mode 1
		.amdhsa_fp16_overflow 0
		.amdhsa_exception_fp_ieee_invalid_op 0
		.amdhsa_exception_fp_denorm_src 0
		.amdhsa_exception_fp_ieee_div_zero 0
		.amdhsa_exception_fp_ieee_overflow 0
		.amdhsa_exception_fp_ieee_underflow 0
		.amdhsa_exception_fp_ieee_inexact 0
		.amdhsa_exception_int_div_zero 0
	.end_amdhsa_kernel
	.section	.text._ZN9rocsparseL24bsrsm_upper_large_kernelILj512ELj16ELb0E21rocsparse_complex_numIfEEEviiPKiS4_PKT2_iPS5_iPiS4_S9_21rocsparse_index_base_20rocsparse_diag_type_20rocsparse_direction_,"axG",@progbits,_ZN9rocsparseL24bsrsm_upper_large_kernelILj512ELj16ELb0E21rocsparse_complex_numIfEEEviiPKiS4_PKT2_iPS5_iPiS4_S9_21rocsparse_index_base_20rocsparse_diag_type_20rocsparse_direction_,comdat
.Lfunc_end44:
	.size	_ZN9rocsparseL24bsrsm_upper_large_kernelILj512ELj16ELb0E21rocsparse_complex_numIfEEEviiPKiS4_PKT2_iPS5_iPiS4_S9_21rocsparse_index_base_20rocsparse_diag_type_20rocsparse_direction_, .Lfunc_end44-_ZN9rocsparseL24bsrsm_upper_large_kernelILj512ELj16ELb0E21rocsparse_complex_numIfEEEviiPKiS4_PKT2_iPS5_iPiS4_S9_21rocsparse_index_base_20rocsparse_diag_type_20rocsparse_direction_
                                        ; -- End function
	.set _ZN9rocsparseL24bsrsm_upper_large_kernelILj512ELj16ELb0E21rocsparse_complex_numIfEEEviiPKiS4_PKT2_iPS5_iPiS4_S9_21rocsparse_index_base_20rocsparse_diag_type_20rocsparse_direction_.num_vgpr, 18
	.set _ZN9rocsparseL24bsrsm_upper_large_kernelILj512ELj16ELb0E21rocsparse_complex_numIfEEEviiPKiS4_PKT2_iPS5_iPiS4_S9_21rocsparse_index_base_20rocsparse_diag_type_20rocsparse_direction_.num_agpr, 0
	.set _ZN9rocsparseL24bsrsm_upper_large_kernelILj512ELj16ELb0E21rocsparse_complex_numIfEEEviiPKiS4_PKT2_iPS5_iPiS4_S9_21rocsparse_index_base_20rocsparse_diag_type_20rocsparse_direction_.numbered_sgpr, 42
	.set _ZN9rocsparseL24bsrsm_upper_large_kernelILj512ELj16ELb0E21rocsparse_complex_numIfEEEviiPKiS4_PKT2_iPS5_iPiS4_S9_21rocsparse_index_base_20rocsparse_diag_type_20rocsparse_direction_.num_named_barrier, 0
	.set _ZN9rocsparseL24bsrsm_upper_large_kernelILj512ELj16ELb0E21rocsparse_complex_numIfEEEviiPKiS4_PKT2_iPS5_iPiS4_S9_21rocsparse_index_base_20rocsparse_diag_type_20rocsparse_direction_.private_seg_size, 0
	.set _ZN9rocsparseL24bsrsm_upper_large_kernelILj512ELj16ELb0E21rocsparse_complex_numIfEEEviiPKiS4_PKT2_iPS5_iPiS4_S9_21rocsparse_index_base_20rocsparse_diag_type_20rocsparse_direction_.uses_vcc, 1
	.set _ZN9rocsparseL24bsrsm_upper_large_kernelILj512ELj16ELb0E21rocsparse_complex_numIfEEEviiPKiS4_PKT2_iPS5_iPiS4_S9_21rocsparse_index_base_20rocsparse_diag_type_20rocsparse_direction_.uses_flat_scratch, 0
	.set _ZN9rocsparseL24bsrsm_upper_large_kernelILj512ELj16ELb0E21rocsparse_complex_numIfEEEviiPKiS4_PKT2_iPS5_iPiS4_S9_21rocsparse_index_base_20rocsparse_diag_type_20rocsparse_direction_.has_dyn_sized_stack, 0
	.set _ZN9rocsparseL24bsrsm_upper_large_kernelILj512ELj16ELb0E21rocsparse_complex_numIfEEEviiPKiS4_PKT2_iPS5_iPiS4_S9_21rocsparse_index_base_20rocsparse_diag_type_20rocsparse_direction_.has_recursion, 0
	.set _ZN9rocsparseL24bsrsm_upper_large_kernelILj512ELj16ELb0E21rocsparse_complex_numIfEEEviiPKiS4_PKT2_iPS5_iPiS4_S9_21rocsparse_index_base_20rocsparse_diag_type_20rocsparse_direction_.has_indirect_call, 0
	.section	.AMDGPU.csdata,"",@progbits
; Kernel info:
; codeLenInByte = 1560
; TotalNumSgprs: 46
; NumVgprs: 18
; ScratchSize: 0
; MemoryBound: 0
; FloatMode: 240
; IeeeMode: 1
; LDSByteSize: 0 bytes/workgroup (compile time only)
; SGPRBlocks: 5
; VGPRBlocks: 4
; NumSGPRsForWavesPerEU: 46
; NumVGPRsForWavesPerEU: 18
; Occupancy: 10
; WaveLimiterHint : 1
; COMPUTE_PGM_RSRC2:SCRATCH_EN: 0
; COMPUTE_PGM_RSRC2:USER_SGPR: 6
; COMPUTE_PGM_RSRC2:TRAP_HANDLER: 0
; COMPUTE_PGM_RSRC2:TGID_X_EN: 1
; COMPUTE_PGM_RSRC2:TGID_Y_EN: 0
; COMPUTE_PGM_RSRC2:TGID_Z_EN: 0
; COMPUTE_PGM_RSRC2:TIDIG_COMP_CNT: 0
	.section	.text._ZN9rocsparseL24bsrsm_lower_large_kernelILj512ELj16ELb0E21rocsparse_complex_numIfEEEviiPKiS4_PKT2_iPS5_iPiS4_S9_21rocsparse_index_base_20rocsparse_diag_type_20rocsparse_direction_,"axG",@progbits,_ZN9rocsparseL24bsrsm_lower_large_kernelILj512ELj16ELb0E21rocsparse_complex_numIfEEEviiPKiS4_PKT2_iPS5_iPiS4_S9_21rocsparse_index_base_20rocsparse_diag_type_20rocsparse_direction_,comdat
	.globl	_ZN9rocsparseL24bsrsm_lower_large_kernelILj512ELj16ELb0E21rocsparse_complex_numIfEEEviiPKiS4_PKT2_iPS5_iPiS4_S9_21rocsparse_index_base_20rocsparse_diag_type_20rocsparse_direction_ ; -- Begin function _ZN9rocsparseL24bsrsm_lower_large_kernelILj512ELj16ELb0E21rocsparse_complex_numIfEEEviiPKiS4_PKT2_iPS5_iPiS4_S9_21rocsparse_index_base_20rocsparse_diag_type_20rocsparse_direction_
	.p2align	8
	.type	_ZN9rocsparseL24bsrsm_lower_large_kernelILj512ELj16ELb0E21rocsparse_complex_numIfEEEviiPKiS4_PKT2_iPS5_iPiS4_S9_21rocsparse_index_base_20rocsparse_diag_type_20rocsparse_direction_,@function
_ZN9rocsparseL24bsrsm_lower_large_kernelILj512ELj16ELb0E21rocsparse_complex_numIfEEEviiPKiS4_PKT2_iPS5_iPiS4_S9_21rocsparse_index_base_20rocsparse_diag_type_20rocsparse_direction_: ; @_ZN9rocsparseL24bsrsm_lower_large_kernelILj512ELj16ELb0E21rocsparse_complex_numIfEEEviiPKiS4_PKT2_iPS5_iPiS4_S9_21rocsparse_index_base_20rocsparse_diag_type_20rocsparse_direction_
; %bb.0:
	s_load_dwordx2 s[24:25], s[4:5], 0x0
	s_load_dwordx4 s[16:19], s[4:5], 0x8
	s_load_dwordx4 s[8:11], s[4:5], 0x38
	s_load_dwordx2 s[20:21], s[4:5], 0x48
	v_lshrrev_b32_e32 v6, 5, v0
	v_and_b32_e32 v5, 31, v0
	s_waitcnt lgkmcnt(0)
	v_cvt_f32_u32_e32 v1, s24
	s_sub_i32 s0, 0, s24
	v_rcp_iflag_f32_e32 v1, v1
	v_mul_f32_e32 v1, 0x4f7ffffe, v1
	v_cvt_u32_f32_e32 v1, v1
	v_readfirstlane_b32 s1, v1
	s_mul_i32 s0, s0, s1
	s_mul_hi_u32 s0, s1, s0
	s_add_i32 s1, s1, s0
	s_mul_hi_u32 s0, s6, s1
	s_mul_i32 s1, s0, s24
	s_sub_i32 s1, s6, s1
	s_add_i32 s2, s0, 1
	s_sub_i32 s3, s1, s24
	s_cmp_ge_u32 s1, s24
	s_cselect_b32 s0, s2, s0
	s_cselect_b32 s1, s3, s1
	s_add_i32 s2, s0, 1
	s_cmp_ge_u32 s1, s24
	s_cselect_b32 s26, s2, s0
	s_mul_i32 s33, s26, s24
	s_sub_i32 s0, s6, s33
	s_ashr_i32 s1, s0, 31
	s_lshl_b64 s[0:1], s[0:1], 2
	s_add_u32 s0, s10, s0
	s_addc_u32 s1, s11, s1
	s_load_dword s6, s[0:1], 0x0
	s_load_dwordx2 s[10:11], s[4:5], 0x18
	s_load_dword s34, s[4:5], 0x20
	s_load_dwordx2 s[22:23], s[4:5], 0x28
	s_load_dword s35, s[4:5], 0x30
	s_load_dwordx4 s[12:15], s[4:5], 0x50
	s_waitcnt lgkmcnt(0)
	s_ashr_i32 s7, s6, 31
	s_lshl_b64 s[0:1], s[6:7], 2
	s_add_u32 s0, s16, s0
	s_addc_u32 s1, s17, s1
	s_load_dwordx2 s[2:3], s[0:1], 0x0
	s_lshl_b32 s36, s26, 4
	v_or_b32_e32 v1, s36, v6
	s_mul_i32 s7, s6, s34
	v_cmp_gt_i32_e32 vcc, s25, v1
	s_waitcnt lgkmcnt(0)
	s_sub_i32 s4, s2, s12
	s_cmp_ge_i32 s2, s3
	s_mul_i32 s37, s34, s34
	v_cmp_eq_u32_e64 s[0:1], 0, v0
	s_cbranch_scc1 .LBB45_17
; %bb.1:
	s_mul_i32 s5, s34, s4
	v_add_u32_e32 v2, s5, v5
	v_mul_lo_u32 v7, s34, v2
	s_sub_i32 s15, s3, s12
	v_cmp_gt_i32_e64 s[2:3], s34, v5
	s_cmp_lg_u32 s14, 0
	s_cselect_b64 s[16:17], -1, 0
	s_and_b64 s[2:3], vcc, s[2:3]
	s_mul_i32 s38, s35, s34
	s_lshl_b32 s39, s34, 5
	v_mov_b32_e32 v8, 0
	s_branch .LBB45_3
.LBB45_2:                               ;   in Loop: Header=BB45_3 Depth=1
                                        ; implicit-def: $vgpr7
	s_and_b64 vcc, exec, s[26:27]
	s_cbranch_vccnz .LBB45_18
.LBB45_3:                               ; =>This Loop Header: Depth=1
                                        ;     Child Loop BB45_6 Depth 2
                                        ;     Child Loop BB45_10 Depth 2
                                        ;       Child Loop BB45_12 Depth 3
	s_ashr_i32 s5, s4, 31
	s_lshl_b64 s[26:27], s[4:5], 2
	s_add_u32 s26, s18, s26
	s_addc_u32 s27, s19, s27
	global_load_dword v2, v8, s[26:27]
	s_mov_b64 s[26:27], -1
	s_waitcnt vmcnt(0)
	v_readfirstlane_b32 s5, v2
	s_sub_i32 s5, s5, s12
	s_cmp_ge_i32 s5, s6
	s_cbranch_scc1 .LBB45_2
; %bb.4:                                ;   in Loop: Header=BB45_3 Depth=1
	s_and_saveexec_b64 s[26:27], s[0:1]
	s_cbranch_execz .LBB45_7
; %bb.5:                                ;   in Loop: Header=BB45_3 Depth=1
	s_add_i32 s28, s5, s33
	s_ashr_i32 s29, s28, 31
	s_lshl_b64 s[28:29], s[28:29], 2
	s_add_u32 s28, s8, s28
	s_addc_u32 s29, s9, s29
	global_load_dword v2, v8, s[28:29] glc
	s_waitcnt vmcnt(0)
	v_cmp_ne_u32_e32 vcc, 0, v2
	s_cbranch_vccnz .LBB45_7
.LBB45_6:                               ;   Parent Loop BB45_3 Depth=1
                                        ; =>  This Inner Loop Header: Depth=2
	global_load_dword v2, v8, s[28:29] glc
	s_waitcnt vmcnt(0)
	v_cmp_eq_u32_e32 vcc, 0, v2
	s_cbranch_vccnz .LBB45_6
.LBB45_7:                               ;   in Loop: Header=BB45_3 Depth=1
	s_or_b64 exec, exec, s[26:27]
	buffer_wbinvl1_vol
	s_barrier
	s_and_saveexec_b64 s[26:27], s[2:3]
	s_cbranch_execz .LBB45_16
; %bb.8:                                ;   in Loop: Header=BB45_3 Depth=1
	s_mul_i32 s28, s38, s5
	s_mul_i32 s40, s4, s34
	v_add_u32_e32 v9, s28, v1
	s_mov_b64 s[28:29], 0
	v_mov_b32_e32 v10, v7
	v_mov_b32_e32 v11, v5
	s_branch .LBB45_10
.LBB45_9:                               ;   in Loop: Header=BB45_10 Depth=2
	v_add_u32_e32 v2, s7, v11
	v_mad_u64_u32 v[2:3], s[30:31], v2, s35, v[1:2]
	v_mov_b32_e32 v4, s23
	v_add_u32_e32 v11, 32, v11
	v_ashrrev_i32_e32 v3, 31, v2
	v_lshlrev_b64 v[2:3], 3, v[2:3]
	v_add_u32_e32 v10, s39, v10
	v_add_co_u32_e32 v2, vcc, s22, v2
	v_addc_co_u32_e32 v3, vcc, v4, v3, vcc
	global_load_dwordx2 v[14:15], v[2:3], off
	v_cmp_le_i32_e32 vcc, s34, v11
	s_or_b64 s[28:29], vcc, s[28:29]
	s_waitcnt vmcnt(0)
	v_sub_f32_e32 v13, v14, v13
	v_sub_f32_e32 v14, v15, v12
	global_store_dwordx2 v[2:3], v[13:14], off
	s_andn2_b64 exec, exec, s[28:29]
	s_cbranch_execz .LBB45_16
.LBB45_10:                              ;   Parent Loop BB45_3 Depth=1
                                        ; =>  This Loop Header: Depth=2
                                        ;       Child Loop BB45_12 Depth 3
	v_mov_b32_e32 v12, 0
	s_mov_b32 s41, 0
	v_mov_b32_e32 v2, v9
	v_mov_b32_e32 v13, 0
	s_branch .LBB45_12
.LBB45_11:                              ;   in Loop: Header=BB45_12 Depth=3
	v_ashrrev_i32_e32 v4, 31, v3
	v_lshlrev_b64 v[3:4], 3, v[3:4]
	v_mov_b32_e32 v14, s11
	v_add_co_u32_e32 v3, vcc, s10, v3
	v_addc_co_u32_e32 v4, vcc, v14, v4, vcc
	global_load_dwordx2 v[14:15], v[3:4], off
	v_ashrrev_i32_e32 v3, 31, v2
	v_lshlrev_b64 v[3:4], 3, v[2:3]
	v_mov_b32_e32 v16, s23
	v_add_co_u32_e32 v3, vcc, s22, v3
	v_addc_co_u32_e32 v4, vcc, v16, v4, vcc
	global_load_dwordx2 v[3:4], v[3:4], off
	s_add_i32 s41, s41, 1
	s_cmp_eq_u32 s34, s41
	v_add_u32_e32 v2, s35, v2
	s_waitcnt vmcnt(0)
	v_fmac_f32_e32 v13, v14, v3
	v_fmac_f32_e32 v12, v15, v3
	v_fma_f32 v13, -v15, v4, v13
	v_fmac_f32_e32 v12, v14, v4
	s_cbranch_scc1 .LBB45_9
.LBB45_12:                              ;   Parent Loop BB45_3 Depth=1
                                        ;     Parent Loop BB45_10 Depth=2
                                        ; =>    This Inner Loop Header: Depth=3
	s_and_b64 vcc, exec, s[16:17]
	s_cbranch_vccz .LBB45_14
; %bb.13:                               ;   in Loop: Header=BB45_12 Depth=3
	s_add_i32 s30, s41, s40
	s_mul_i32 s30, s30, s34
	v_add_u32_e32 v3, s30, v11
	s_cbranch_execnz .LBB45_11
	s_branch .LBB45_15
.LBB45_14:                              ;   in Loop: Header=BB45_12 Depth=3
                                        ; implicit-def: $vgpr3
.LBB45_15:                              ;   in Loop: Header=BB45_12 Depth=3
	v_add_u32_e32 v3, s41, v10
	s_branch .LBB45_11
.LBB45_16:                              ;   in Loop: Header=BB45_3 Depth=1
	s_or_b64 exec, exec, s[26:27]
	s_add_i32 s4, s4, 1
	s_cmp_ge_i32 s4, s15
	v_add_u32_e32 v7, s37, v7
	s_cselect_b64 s[26:27], -1, 0
	s_and_b64 vcc, exec, s[26:27]
	s_cbranch_vccz .LBB45_3
	s_branch .LBB45_18
.LBB45_17:
	s_mov_b32 s5, s24
.LBB45_18:
	s_cmp_lt_i32 s6, s24
	s_cselect_b64 s[16:17], -1, 0
	s_cmp_eq_u32 s6, s5
	s_cselect_b64 s[0:1], -1, 0
	v_cmp_gt_i32_e32 vcc, s25, v1
	s_and_b64 s[0:1], vcc, s[0:1]
	s_cmp_gt_i32 s34, 0
	s_cselect_b64 s[2:3], -1, 0
	s_and_b64 s[0:1], s[0:1], s[2:3]
	s_mov_b32 s28, 0
	s_and_b64 s[2:3], s[0:1], s[16:17]
	s_mov_b64 s[0:1], 0
	s_and_saveexec_b64 s[18:19], s[2:3]
	s_cbranch_execz .LBB45_33
; %bb.19:
	v_add_u32_e32 v2, s7, v5
	v_mul_lo_u32 v2, s35, v2
	s_cmp_eq_u32 s13, 0
	s_cselect_b64 s[0:1], -1, 0
	s_cmp_lg_u32 s14, 0
	v_add_u32_e32 v2, s35, v2
	v_add3_u32 v9, v6, v2, s36
	v_cndmask_b32_e64 v2, 0, 1, s[0:1]
	s_cselect_b64 s[14:15], -1, 0
	v_add_u32_e32 v8, 1, v5
	s_mul_i32 s13, s4, s34
	s_lshl_b32 s29, s35, 5
	s_mul_i32 s30, s4, s37
	s_add_i32 s31, s34, 1
	s_mov_b64 s[4:5], 0
	v_cmp_ne_u32_e64 s[0:1], 1, v2
	v_mov_b32_e32 v10, 0
	v_mov_b32_e32 v11, s23
	v_mov_b32_e32 v4, 1.0
	s_and_b64 vcc, exec, s[0:1]
	v_mov_b32_e32 v5, 0
	s_cbranch_vccnz .LBB45_21
.LBB45_20:
	s_add_i32 s2, s28, s13
	s_mul_i32 s2, s2, s34
	s_add_i32 s2, s2, s28
	s_ashr_i32 s3, s2, 31
	s_lshl_b64 s[2:3], s[2:3], 3
	s_add_u32 s2, s10, s2
	s_addc_u32 s3, s11, s3
	global_load_dwordx2 v[4:5], v10, s[2:3]
.LBB45_21:                              ; =>This Loop Header: Depth=1
                                        ;     Child Loop BB45_26 Depth 2
	s_add_i32 s2, s28, s7
	s_mul_i32 s2, s2, s35
	s_waitcnt vmcnt(0)
	v_add_u32_e32 v2, s2, v1
	v_ashrrev_i32_e32 v3, 31, v2
	v_lshlrev_b64 v[2:3], 3, v[2:3]
	s_waitcnt vmcnt(0)
	v_cmp_eq_f32_e64 s[2:3], 0, v5
	v_add_co_u32_e32 v6, vcc, s22, v2
	v_addc_co_u32_e32 v7, vcc, v11, v3, vcc
	global_load_dwordx2 v[2:3], v[6:7], off
	v_cmp_eq_f32_e32 vcc, 0, v4
	s_and_b64 s[24:25], vcc, s[2:3]
	s_mov_b64 s[2:3], -1
	s_and_b64 vcc, exec, s[24:25]
	s_cbranch_vccnz .LBB45_23
; %bb.22:                               ;   in Loop: Header=BB45_21 Depth=1
	v_mul_f32_e32 v12, v5, v5
	v_fmac_f32_e32 v12, v4, v4
	v_div_scale_f32 v13, s[2:3], v12, v12, 1.0
	v_div_scale_f32 v14, vcc, 1.0, v12, 1.0
	s_mov_b64 s[2:3], s[4:5]
	v_rcp_f32_e32 v15, v13
	v_fma_f32 v16, -v13, v15, 1.0
	v_fmac_f32_e32 v15, v16, v15
	v_mul_f32_e32 v16, v14, v15
	v_fma_f32 v17, -v13, v16, v14
	v_fmac_f32_e32 v16, v17, v15
	v_fma_f32 v13, -v13, v16, v14
	v_div_fmas_f32 v13, v13, v15, v16
	s_waitcnt vmcnt(0)
	v_mul_f32_e32 v14, v5, v3
	v_mul_f32_e64 v5, v5, -v2
	v_fmac_f32_e32 v14, v2, v4
	v_fmac_f32_e32 v5, v3, v4
	v_div_fixup_f32 v3, v13, v12, 1.0
	v_mul_f32_e32 v2, v3, v14
	v_mul_f32_e32 v3, v3, v5
	global_store_dwordx2 v[6:7], v[2:3], off
.LBB45_23:                              ;   in Loop: Header=BB45_21 Depth=1
	v_add_u32_e32 v7, s28, v8
	v_cmp_gt_i32_e32 vcc, s34, v7
	s_and_saveexec_b64 s[4:5], vcc
	s_cbranch_execz .LBB45_30
; %bb.24:                               ;   in Loop: Header=BB45_21 Depth=1
	s_mov_b64 s[24:25], 0
	v_mov_b32_e32 v4, v9
	v_mov_b32_e32 v12, v8
	s_branch .LBB45_26
.LBB45_25:                              ;   in Loop: Header=BB45_26 Depth=2
	v_ashrrev_i32_e32 v6, 31, v5
	v_lshlrev_b64 v[5:6], 3, v[5:6]
	v_mov_b32_e32 v13, s11
	v_add_co_u32_e32 v5, vcc, s10, v5
	v_addc_co_u32_e32 v6, vcc, v13, v6, vcc
	global_load_dwordx2 v[13:14], v[5:6], off
	v_ashrrev_i32_e32 v5, 31, v4
	v_lshlrev_b64 v[5:6], 3, v[4:5]
	v_mov_b32_e32 v15, s23
	v_add_co_u32_e32 v5, vcc, s22, v5
	v_addc_co_u32_e32 v6, vcc, v15, v6, vcc
	global_load_dwordx2 v[15:16], v[5:6], off
	v_add_u32_e32 v12, 32, v12
	v_add_u32_e32 v17, s28, v12
	v_cmp_le_i32_e32 vcc, s34, v17
	v_add_u32_e32 v7, 32, v7
	s_or_b64 s[24:25], vcc, s[24:25]
	v_add_u32_e32 v4, s29, v4
	s_waitcnt vmcnt(1)
	v_mul_f32_e64 v17, v14, -v3
	v_mul_f32_e32 v14, v2, v14
	v_fmac_f32_e32 v17, v2, v13
	v_fmac_f32_e32 v14, v3, v13
	s_waitcnt vmcnt(0)
	v_sub_f32_e32 v13, v15, v17
	v_sub_f32_e32 v14, v16, v14
	global_store_dwordx2 v[5:6], v[13:14], off
	s_andn2_b64 exec, exec, s[24:25]
	s_cbranch_execz .LBB45_30
.LBB45_26:                              ;   Parent Loop BB45_21 Depth=1
                                        ; =>  This Inner Loop Header: Depth=2
	s_and_b64 vcc, exec, s[14:15]
	s_cbranch_vccz .LBB45_28
; %bb.27:                               ;   in Loop: Header=BB45_26 Depth=2
	v_add_u32_e32 v5, s30, v12
	s_cbranch_execnz .LBB45_25
	s_branch .LBB45_29
.LBB45_28:                              ;   in Loop: Header=BB45_26 Depth=2
                                        ; implicit-def: $vgpr5
.LBB45_29:                              ;   in Loop: Header=BB45_26 Depth=2
	v_add_u32_e32 v5, s13, v7
	v_mul_lo_u32 v5, v5, s34
	v_add_u32_e32 v5, s28, v5
	s_branch .LBB45_25
.LBB45_30:                              ;   in Loop: Header=BB45_21 Depth=1
	s_or_b64 exec, exec, s[4:5]
	s_add_i32 s28, s28, 1
	s_add_i32 s30, s30, s31
	s_cmp_eq_u32 s28, s34
	v_add_u32_e32 v9, s35, v9
	s_cbranch_scc1 .LBB45_32
; %bb.31:                               ;   in Loop: Header=BB45_21 Depth=1
	s_mov_b64 s[4:5], s[2:3]
	v_mov_b32_e32 v4, 1.0
	s_and_b64 vcc, exec, s[0:1]
	v_mov_b32_e32 v5, 0
	s_cbranch_vccnz .LBB45_21
	s_branch .LBB45_20
.LBB45_32:
	s_and_b64 s[0:1], s[2:3], exec
.LBB45_33:
	s_or_b64 exec, exec, s[18:19]
	v_cmp_eq_u32_e32 vcc, 0, v0
	s_and_b64 s[2:3], vcc, s[16:17]
	s_waitcnt vmcnt(0)
	buffer_wbinvl1_vol
	s_barrier
	s_and_saveexec_b64 s[4:5], s[2:3]
	s_cbranch_execz .LBB45_37
; %bb.34:
	s_add_i32 s2, s6, s33
	s_ashr_i32 s3, s2, 31
	s_lshl_b64 s[2:3], s[2:3], 2
	s_add_u32 s2, s8, s2
	s_addc_u32 s3, s9, s3
	v_mov_b32_e32 v0, 0
	v_mov_b32_e32 v1, 1
	global_store_dword v0, v1, s[2:3]
	s_and_b64 exec, exec, s[0:1]
	s_cbranch_execz .LBB45_37
; %bb.35:
	v_mbcnt_lo_u32_b32 v0, exec_lo, 0
	v_mbcnt_hi_u32_b32 v0, exec_hi, v0
	v_cmp_eq_u32_e32 vcc, 0, v0
	s_and_b64 exec, exec, vcc
	s_cbranch_execz .LBB45_37
; %bb.36:
	s_add_i32 s0, s6, s12
	v_mov_b32_e32 v0, 0
	v_mov_b32_e32 v1, s0
	global_atomic_smin v0, v1, s[20:21]
.LBB45_37:
	s_endpgm
	.section	.rodata,"a",@progbits
	.p2align	6, 0x0
	.amdhsa_kernel _ZN9rocsparseL24bsrsm_lower_large_kernelILj512ELj16ELb0E21rocsparse_complex_numIfEEEviiPKiS4_PKT2_iPS5_iPiS4_S9_21rocsparse_index_base_20rocsparse_diag_type_20rocsparse_direction_
		.amdhsa_group_segment_fixed_size 0
		.amdhsa_private_segment_fixed_size 0
		.amdhsa_kernarg_size 92
		.amdhsa_user_sgpr_count 6
		.amdhsa_user_sgpr_private_segment_buffer 1
		.amdhsa_user_sgpr_dispatch_ptr 0
		.amdhsa_user_sgpr_queue_ptr 0
		.amdhsa_user_sgpr_kernarg_segment_ptr 1
		.amdhsa_user_sgpr_dispatch_id 0
		.amdhsa_user_sgpr_flat_scratch_init 0
		.amdhsa_user_sgpr_private_segment_size 0
		.amdhsa_uses_dynamic_stack 0
		.amdhsa_system_sgpr_private_segment_wavefront_offset 0
		.amdhsa_system_sgpr_workgroup_id_x 1
		.amdhsa_system_sgpr_workgroup_id_y 0
		.amdhsa_system_sgpr_workgroup_id_z 0
		.amdhsa_system_sgpr_workgroup_info 0
		.amdhsa_system_vgpr_workitem_id 0
		.amdhsa_next_free_vgpr 18
		.amdhsa_next_free_sgpr 42
		.amdhsa_reserve_vcc 1
		.amdhsa_reserve_flat_scratch 0
		.amdhsa_float_round_mode_32 0
		.amdhsa_float_round_mode_16_64 0
		.amdhsa_float_denorm_mode_32 3
		.amdhsa_float_denorm_mode_16_64 3
		.amdhsa_dx10_clamp 1
		.amdhsa_ieee_mode 1
		.amdhsa_fp16_overflow 0
		.amdhsa_exception_fp_ieee_invalid_op 0
		.amdhsa_exception_fp_denorm_src 0
		.amdhsa_exception_fp_ieee_div_zero 0
		.amdhsa_exception_fp_ieee_overflow 0
		.amdhsa_exception_fp_ieee_underflow 0
		.amdhsa_exception_fp_ieee_inexact 0
		.amdhsa_exception_int_div_zero 0
	.end_amdhsa_kernel
	.section	.text._ZN9rocsparseL24bsrsm_lower_large_kernelILj512ELj16ELb0E21rocsparse_complex_numIfEEEviiPKiS4_PKT2_iPS5_iPiS4_S9_21rocsparse_index_base_20rocsparse_diag_type_20rocsparse_direction_,"axG",@progbits,_ZN9rocsparseL24bsrsm_lower_large_kernelILj512ELj16ELb0E21rocsparse_complex_numIfEEEviiPKiS4_PKT2_iPS5_iPiS4_S9_21rocsparse_index_base_20rocsparse_diag_type_20rocsparse_direction_,comdat
.Lfunc_end45:
	.size	_ZN9rocsparseL24bsrsm_lower_large_kernelILj512ELj16ELb0E21rocsparse_complex_numIfEEEviiPKiS4_PKT2_iPS5_iPiS4_S9_21rocsparse_index_base_20rocsparse_diag_type_20rocsparse_direction_, .Lfunc_end45-_ZN9rocsparseL24bsrsm_lower_large_kernelILj512ELj16ELb0E21rocsparse_complex_numIfEEEviiPKiS4_PKT2_iPS5_iPiS4_S9_21rocsparse_index_base_20rocsparse_diag_type_20rocsparse_direction_
                                        ; -- End function
	.set _ZN9rocsparseL24bsrsm_lower_large_kernelILj512ELj16ELb0E21rocsparse_complex_numIfEEEviiPKiS4_PKT2_iPS5_iPiS4_S9_21rocsparse_index_base_20rocsparse_diag_type_20rocsparse_direction_.num_vgpr, 18
	.set _ZN9rocsparseL24bsrsm_lower_large_kernelILj512ELj16ELb0E21rocsparse_complex_numIfEEEviiPKiS4_PKT2_iPS5_iPiS4_S9_21rocsparse_index_base_20rocsparse_diag_type_20rocsparse_direction_.num_agpr, 0
	.set _ZN9rocsparseL24bsrsm_lower_large_kernelILj512ELj16ELb0E21rocsparse_complex_numIfEEEviiPKiS4_PKT2_iPS5_iPiS4_S9_21rocsparse_index_base_20rocsparse_diag_type_20rocsparse_direction_.numbered_sgpr, 42
	.set _ZN9rocsparseL24bsrsm_lower_large_kernelILj512ELj16ELb0E21rocsparse_complex_numIfEEEviiPKiS4_PKT2_iPS5_iPiS4_S9_21rocsparse_index_base_20rocsparse_diag_type_20rocsparse_direction_.num_named_barrier, 0
	.set _ZN9rocsparseL24bsrsm_lower_large_kernelILj512ELj16ELb0E21rocsparse_complex_numIfEEEviiPKiS4_PKT2_iPS5_iPiS4_S9_21rocsparse_index_base_20rocsparse_diag_type_20rocsparse_direction_.private_seg_size, 0
	.set _ZN9rocsparseL24bsrsm_lower_large_kernelILj512ELj16ELb0E21rocsparse_complex_numIfEEEviiPKiS4_PKT2_iPS5_iPiS4_S9_21rocsparse_index_base_20rocsparse_diag_type_20rocsparse_direction_.uses_vcc, 1
	.set _ZN9rocsparseL24bsrsm_lower_large_kernelILj512ELj16ELb0E21rocsparse_complex_numIfEEEviiPKiS4_PKT2_iPS5_iPiS4_S9_21rocsparse_index_base_20rocsparse_diag_type_20rocsparse_direction_.uses_flat_scratch, 0
	.set _ZN9rocsparseL24bsrsm_lower_large_kernelILj512ELj16ELb0E21rocsparse_complex_numIfEEEviiPKiS4_PKT2_iPS5_iPiS4_S9_21rocsparse_index_base_20rocsparse_diag_type_20rocsparse_direction_.has_dyn_sized_stack, 0
	.set _ZN9rocsparseL24bsrsm_lower_large_kernelILj512ELj16ELb0E21rocsparse_complex_numIfEEEviiPKiS4_PKT2_iPS5_iPiS4_S9_21rocsparse_index_base_20rocsparse_diag_type_20rocsparse_direction_.has_recursion, 0
	.set _ZN9rocsparseL24bsrsm_lower_large_kernelILj512ELj16ELb0E21rocsparse_complex_numIfEEEviiPKiS4_PKT2_iPS5_iPiS4_S9_21rocsparse_index_base_20rocsparse_diag_type_20rocsparse_direction_.has_indirect_call, 0
	.section	.AMDGPU.csdata,"",@progbits
; Kernel info:
; codeLenInByte = 1580
; TotalNumSgprs: 46
; NumVgprs: 18
; ScratchSize: 0
; MemoryBound: 0
; FloatMode: 240
; IeeeMode: 1
; LDSByteSize: 0 bytes/workgroup (compile time only)
; SGPRBlocks: 5
; VGPRBlocks: 4
; NumSGPRsForWavesPerEU: 46
; NumVGPRsForWavesPerEU: 18
; Occupancy: 10
; WaveLimiterHint : 1
; COMPUTE_PGM_RSRC2:SCRATCH_EN: 0
; COMPUTE_PGM_RSRC2:USER_SGPR: 6
; COMPUTE_PGM_RSRC2:TRAP_HANDLER: 0
; COMPUTE_PGM_RSRC2:TGID_X_EN: 1
; COMPUTE_PGM_RSRC2:TGID_Y_EN: 0
; COMPUTE_PGM_RSRC2:TGID_Z_EN: 0
; COMPUTE_PGM_RSRC2:TIDIG_COMP_CNT: 0
	.section	.text._ZN9rocsparseL24bsrsm_upper_large_kernelILj1024ELj16ELb0E21rocsparse_complex_numIfEEEviiPKiS4_PKT2_iPS5_iPiS4_S9_21rocsparse_index_base_20rocsparse_diag_type_20rocsparse_direction_,"axG",@progbits,_ZN9rocsparseL24bsrsm_upper_large_kernelILj1024ELj16ELb0E21rocsparse_complex_numIfEEEviiPKiS4_PKT2_iPS5_iPiS4_S9_21rocsparse_index_base_20rocsparse_diag_type_20rocsparse_direction_,comdat
	.globl	_ZN9rocsparseL24bsrsm_upper_large_kernelILj1024ELj16ELb0E21rocsparse_complex_numIfEEEviiPKiS4_PKT2_iPS5_iPiS4_S9_21rocsparse_index_base_20rocsparse_diag_type_20rocsparse_direction_ ; -- Begin function _ZN9rocsparseL24bsrsm_upper_large_kernelILj1024ELj16ELb0E21rocsparse_complex_numIfEEEviiPKiS4_PKT2_iPS5_iPiS4_S9_21rocsparse_index_base_20rocsparse_diag_type_20rocsparse_direction_
	.p2align	8
	.type	_ZN9rocsparseL24bsrsm_upper_large_kernelILj1024ELj16ELb0E21rocsparse_complex_numIfEEEviiPKiS4_PKT2_iPS5_iPiS4_S9_21rocsparse_index_base_20rocsparse_diag_type_20rocsparse_direction_,@function
_ZN9rocsparseL24bsrsm_upper_large_kernelILj1024ELj16ELb0E21rocsparse_complex_numIfEEEviiPKiS4_PKT2_iPS5_iPiS4_S9_21rocsparse_index_base_20rocsparse_diag_type_20rocsparse_direction_: ; @_ZN9rocsparseL24bsrsm_upper_large_kernelILj1024ELj16ELb0E21rocsparse_complex_numIfEEEviiPKiS4_PKT2_iPS5_iPiS4_S9_21rocsparse_index_base_20rocsparse_diag_type_20rocsparse_direction_
; %bb.0:
	s_load_dwordx2 s[24:25], s[4:5], 0x0
	s_load_dwordx4 s[16:19], s[4:5], 0x8
	s_load_dwordx4 s[8:11], s[4:5], 0x38
	s_load_dwordx2 s[20:21], s[4:5], 0x48
	v_lshrrev_b32_e32 v5, 6, v0
	v_and_b32_e32 v8, 63, v0
	s_waitcnt lgkmcnt(0)
	v_cvt_f32_u32_e32 v1, s24
	s_sub_i32 s0, 0, s24
	v_rcp_iflag_f32_e32 v1, v1
	v_mul_f32_e32 v1, 0x4f7ffffe, v1
	v_cvt_u32_f32_e32 v1, v1
	v_readfirstlane_b32 s1, v1
	s_mul_i32 s0, s0, s1
	s_mul_hi_u32 s0, s1, s0
	s_add_i32 s1, s1, s0
	s_mul_hi_u32 s0, s6, s1
	s_mul_i32 s1, s0, s24
	s_sub_i32 s1, s6, s1
	s_add_i32 s2, s0, 1
	s_sub_i32 s3, s1, s24
	s_cmp_ge_u32 s1, s24
	s_cselect_b32 s0, s2, s0
	s_cselect_b32 s1, s3, s1
	s_add_i32 s2, s0, 1
	s_cmp_ge_u32 s1, s24
	s_cselect_b32 s26, s2, s0
	s_mul_i32 s33, s26, s24
	s_sub_i32 s0, s6, s33
	s_ashr_i32 s1, s0, 31
	s_lshl_b64 s[0:1], s[0:1], 2
	s_add_u32 s0, s10, s0
	s_addc_u32 s1, s11, s1
	s_load_dword s6, s[0:1], 0x0
	s_load_dwordx2 s[10:11], s[4:5], 0x18
	s_load_dword s34, s[4:5], 0x20
	s_load_dwordx2 s[22:23], s[4:5], 0x28
	s_load_dword s35, s[4:5], 0x30
	s_load_dwordx4 s[12:15], s[4:5], 0x50
	s_waitcnt lgkmcnt(0)
	s_ashr_i32 s7, s6, 31
	s_lshl_b64 s[0:1], s[6:7], 2
	s_add_u32 s0, s16, s0
	s_addc_u32 s1, s17, s1
	s_load_dwordx2 s[2:3], s[0:1], 0x0
	s_lshl_b32 s36, s26, 4
	s_not_b32 s0, s12
	v_or_b32_e32 v1, s36, v5
	v_cmp_gt_i32_e32 vcc, s25, v1
	s_waitcnt lgkmcnt(0)
	s_sub_i32 s15, s2, s12
	s_add_i32 s4, s3, s0
	s_cmp_lt_i32 s4, s15
	s_mul_i32 s7, s6, s34
	v_cmp_eq_u32_e64 s[0:1], 0, v0
	s_cbranch_scc1 .LBB46_17
; %bb.1:
	s_mul_i32 s5, s34, s4
	v_add_u32_e32 v2, s5, v8
	v_mul_lo_u32 v7, s34, v2
	v_cmp_gt_i32_e64 s[2:3], s34, v8
	s_cmp_lg_u32 s14, 0
	s_cselect_b64 s[16:17], -1, 0
	s_and_b64 s[2:3], vcc, s[2:3]
	v_add_u32_e32 v6, s36, v5
	s_mul_i32 s37, s35, s34
	s_mul_i32 s38, s34, s34
	s_lshl_b32 s39, s34, 6
	v_mov_b32_e32 v9, 0
	s_branch .LBB46_3
.LBB46_2:                               ;   in Loop: Header=BB46_3 Depth=1
                                        ; implicit-def: $vgpr7
	s_and_b64 vcc, exec, s[26:27]
	s_cbranch_vccnz .LBB46_18
.LBB46_3:                               ; =>This Loop Header: Depth=1
                                        ;     Child Loop BB46_6 Depth 2
                                        ;     Child Loop BB46_10 Depth 2
                                        ;       Child Loop BB46_12 Depth 3
	s_ashr_i32 s5, s4, 31
	s_lshl_b64 s[26:27], s[4:5], 2
	s_add_u32 s26, s18, s26
	s_addc_u32 s27, s19, s27
	global_load_dword v2, v9, s[26:27]
	s_mov_b64 s[26:27], -1
	s_waitcnt vmcnt(0)
	v_readfirstlane_b32 s5, v2
	s_sub_i32 s5, s5, s12
	s_cmp_le_i32 s5, s6
	s_cbranch_scc1 .LBB46_2
; %bb.4:                                ;   in Loop: Header=BB46_3 Depth=1
	s_and_saveexec_b64 s[26:27], s[0:1]
	s_cbranch_execz .LBB46_7
; %bb.5:                                ;   in Loop: Header=BB46_3 Depth=1
	s_add_i32 s28, s5, s33
	s_ashr_i32 s29, s28, 31
	s_lshl_b64 s[28:29], s[28:29], 2
	s_add_u32 s28, s8, s28
	s_addc_u32 s29, s9, s29
	global_load_dword v2, v9, s[28:29] glc
	s_waitcnt vmcnt(0)
	v_cmp_ne_u32_e32 vcc, 0, v2
	s_cbranch_vccnz .LBB46_7
.LBB46_6:                               ;   Parent Loop BB46_3 Depth=1
                                        ; =>  This Inner Loop Header: Depth=2
	global_load_dword v2, v9, s[28:29] glc
	s_waitcnt vmcnt(0)
	v_cmp_eq_u32_e32 vcc, 0, v2
	s_cbranch_vccnz .LBB46_6
.LBB46_7:                               ;   in Loop: Header=BB46_3 Depth=1
	s_or_b64 exec, exec, s[26:27]
	buffer_wbinvl1_vol
	s_barrier
	s_and_saveexec_b64 s[26:27], s[2:3]
	s_cbranch_execz .LBB46_16
; %bb.8:                                ;   in Loop: Header=BB46_3 Depth=1
	s_mul_i32 s28, s37, s5
	s_mul_i32 s40, s4, s34
	v_add_u32_e32 v10, s28, v6
	s_mov_b64 s[28:29], 0
	v_mov_b32_e32 v11, v7
	v_mov_b32_e32 v12, v8
	s_branch .LBB46_10
.LBB46_9:                               ;   in Loop: Header=BB46_10 Depth=2
	v_add_u32_e32 v2, s7, v12
	v_mad_u64_u32 v[2:3], s[30:31], v2, s35, v[1:2]
	v_mov_b32_e32 v4, s23
	v_add_u32_e32 v12, 64, v12
	v_ashrrev_i32_e32 v3, 31, v2
	v_lshlrev_b64 v[2:3], 3, v[2:3]
	v_add_u32_e32 v11, s39, v11
	v_add_co_u32_e32 v2, vcc, s22, v2
	v_addc_co_u32_e32 v3, vcc, v4, v3, vcc
	global_load_dwordx2 v[15:16], v[2:3], off
	v_cmp_le_i32_e32 vcc, s34, v12
	s_or_b64 s[28:29], vcc, s[28:29]
	s_waitcnt vmcnt(0)
	v_sub_f32_e32 v14, v15, v14
	v_sub_f32_e32 v15, v16, v13
	global_store_dwordx2 v[2:3], v[14:15], off
	s_andn2_b64 exec, exec, s[28:29]
	s_cbranch_execz .LBB46_16
.LBB46_10:                              ;   Parent Loop BB46_3 Depth=1
                                        ; =>  This Loop Header: Depth=2
                                        ;       Child Loop BB46_12 Depth 3
	v_mov_b32_e32 v13, 0
	s_mov_b32 s41, 0
	v_mov_b32_e32 v2, v10
	v_mov_b32_e32 v14, 0
	s_branch .LBB46_12
.LBB46_11:                              ;   in Loop: Header=BB46_12 Depth=3
	v_ashrrev_i32_e32 v4, 31, v3
	v_lshlrev_b64 v[3:4], 3, v[3:4]
	v_mov_b32_e32 v15, s11
	v_add_co_u32_e32 v3, vcc, s10, v3
	v_addc_co_u32_e32 v4, vcc, v15, v4, vcc
	global_load_dwordx2 v[15:16], v[3:4], off
	v_ashrrev_i32_e32 v3, 31, v2
	v_lshlrev_b64 v[3:4], 3, v[2:3]
	v_mov_b32_e32 v17, s23
	v_add_co_u32_e32 v3, vcc, s22, v3
	v_addc_co_u32_e32 v4, vcc, v17, v4, vcc
	global_load_dwordx2 v[3:4], v[3:4], off
	s_add_i32 s41, s41, 1
	s_cmp_eq_u32 s34, s41
	v_add_u32_e32 v2, s35, v2
	s_waitcnt vmcnt(0)
	v_fmac_f32_e32 v14, v15, v3
	v_fmac_f32_e32 v13, v16, v3
	v_fma_f32 v14, -v16, v4, v14
	v_fmac_f32_e32 v13, v15, v4
	s_cbranch_scc1 .LBB46_9
.LBB46_12:                              ;   Parent Loop BB46_3 Depth=1
                                        ;     Parent Loop BB46_10 Depth=2
                                        ; =>    This Inner Loop Header: Depth=3
	s_and_b64 vcc, exec, s[16:17]
	s_cbranch_vccz .LBB46_14
; %bb.13:                               ;   in Loop: Header=BB46_12 Depth=3
	s_add_i32 s30, s41, s40
	s_mul_i32 s30, s30, s34
	v_add_u32_e32 v3, s30, v12
	s_cbranch_execnz .LBB46_11
	s_branch .LBB46_15
.LBB46_14:                              ;   in Loop: Header=BB46_12 Depth=3
                                        ; implicit-def: $vgpr3
.LBB46_15:                              ;   in Loop: Header=BB46_12 Depth=3
	v_add_u32_e32 v3, s41, v11
	s_branch .LBB46_11
.LBB46_16:                              ;   in Loop: Header=BB46_3 Depth=1
	s_or_b64 exec, exec, s[26:27]
	s_add_i32 s28, s4, -1
	s_cmp_le_i32 s4, s15
	v_subrev_u32_e32 v7, s38, v7
	s_cselect_b64 s[26:27], -1, 0
	s_mov_b32 s4, s28
	s_and_b64 vcc, exec, s[26:27]
	s_cbranch_vccz .LBB46_3
	s_branch .LBB46_18
.LBB46_17:
	s_mov_b32 s5, s24
.LBB46_18:
	s_cmp_lt_i32 s6, s24
	s_cselect_b64 s[16:17], -1, 0
	s_cmp_eq_u32 s6, s5
	s_cselect_b64 s[0:1], -1, 0
	s_and_b64 s[0:1], s[16:17], s[0:1]
	v_cmp_gt_i32_e32 vcc, s25, v1
	s_and_b64 s[0:1], s[0:1], vcc
	s_cmp_gt_i32 s34, 0
	s_cselect_b64 s[2:3], -1, 0
	s_and_b64 s[2:3], s[0:1], s[2:3]
	s_mov_b64 s[0:1], 0
	s_and_saveexec_b64 s[18:19], s[2:3]
	s_cbranch_execz .LBB46_35
; %bb.19:
	v_add_u32_e32 v2, s7, v8
	s_cmp_eq_u32 s13, 0
	v_mul_lo_u32 v2, s35, v2
	s_cselect_b64 s[0:1], -1, 0
	s_cmp_lg_u32 s14, 0
	s_cselect_b64 s[14:15], -1, 0
	s_add_i32 s2, s4, 1
	s_mul_i32 s2, s34, s2
	v_add3_u32 v9, v5, v2, s36
	s_add_i32 s2, s2, -1
	v_cndmask_b32_e64 v2, 0, 1, s[0:1]
	s_mul_i32 s13, s4, s34
	s_lshl_b32 s28, s35, 6
	s_mul_i32 s29, s34, s2
	s_mov_b64 s[4:5], 0
	v_cmp_ne_u32_e64 s[0:1], 1, v2
	v_mov_b32_e32 v10, 0
	v_mov_b32_e32 v11, s23
	s_mov_b32 s30, s34
.LBB46_20:                              ; =>This Loop Header: Depth=1
                                        ;     Child Loop BB46_27 Depth 2
	s_add_i32 s31, s30, -1
	v_mov_b32_e32 v4, 1.0
	s_and_b64 vcc, exec, s[0:1]
	v_mov_b32_e32 v5, 0
	s_cbranch_vccnz .LBB46_22
; %bb.21:                               ;   in Loop: Header=BB46_20 Depth=1
	s_add_i32 s2, s31, s13
	s_mul_i32 s2, s2, s34
	s_add_i32 s2, s2, s31
	s_ashr_i32 s3, s2, 31
	s_lshl_b64 s[2:3], s[2:3], 3
	s_add_u32 s2, s10, s2
	s_addc_u32 s3, s11, s3
	global_load_dwordx2 v[4:5], v10, s[2:3]
.LBB46_22:                              ;   in Loop: Header=BB46_20 Depth=1
	s_add_i32 s2, s31, s7
	s_mul_i32 s2, s2, s35
	s_waitcnt vmcnt(0)
	v_add_u32_e32 v2, s2, v1
	v_ashrrev_i32_e32 v3, 31, v2
	v_lshlrev_b64 v[2:3], 3, v[2:3]
	s_waitcnt vmcnt(0)
	v_cmp_eq_f32_e64 s[2:3], 0, v5
	v_add_co_u32_e32 v6, vcc, s22, v2
	v_addc_co_u32_e32 v7, vcc, v11, v3, vcc
	global_load_dwordx2 v[2:3], v[6:7], off
	v_cmp_eq_f32_e32 vcc, 0, v4
	s_and_b64 s[24:25], vcc, s[2:3]
	s_mov_b64 s[2:3], -1
	s_and_b64 vcc, exec, s[24:25]
	s_cbranch_vccnz .LBB46_24
; %bb.23:                               ;   in Loop: Header=BB46_20 Depth=1
	v_mul_f32_e32 v12, v5, v5
	v_fmac_f32_e32 v12, v4, v4
	v_div_scale_f32 v13, s[2:3], v12, v12, 1.0
	v_div_scale_f32 v14, vcc, 1.0, v12, 1.0
	s_mov_b64 s[2:3], s[4:5]
	v_rcp_f32_e32 v15, v13
	v_fma_f32 v16, -v13, v15, 1.0
	v_fmac_f32_e32 v15, v16, v15
	v_mul_f32_e32 v16, v14, v15
	v_fma_f32 v17, -v13, v16, v14
	v_fmac_f32_e32 v16, v17, v15
	v_fma_f32 v13, -v13, v16, v14
	v_div_fmas_f32 v13, v13, v15, v16
	s_waitcnt vmcnt(0)
	v_mul_f32_e32 v14, v5, v3
	v_mul_f32_e64 v5, v5, -v2
	v_fmac_f32_e32 v14, v2, v4
	v_fmac_f32_e32 v5, v3, v4
	v_div_fixup_f32 v3, v13, v12, 1.0
	v_mul_f32_e32 v2, v3, v14
	v_mul_f32_e32 v3, v3, v5
	global_store_dwordx2 v[6:7], v[2:3], off
.LBB46_24:                              ;   in Loop: Header=BB46_20 Depth=1
	v_cmp_gt_i32_e32 vcc, s31, v8
	s_and_saveexec_b64 s[4:5], vcc
	s_cbranch_execz .LBB46_31
; %bb.25:                               ;   in Loop: Header=BB46_20 Depth=1
	s_mov_b64 s[24:25], 0
	v_mov_b32_e32 v4, v9
	v_mov_b32_e32 v7, v8
	s_branch .LBB46_27
.LBB46_26:                              ;   in Loop: Header=BB46_27 Depth=2
	v_ashrrev_i32_e32 v6, 31, v5
	v_lshlrev_b64 v[5:6], 3, v[5:6]
	v_mov_b32_e32 v12, s11
	v_add_co_u32_e32 v5, vcc, s10, v5
	v_addc_co_u32_e32 v6, vcc, v12, v6, vcc
	global_load_dwordx2 v[12:13], v[5:6], off
	v_ashrrev_i32_e32 v5, 31, v4
	v_lshlrev_b64 v[5:6], 3, v[4:5]
	v_mov_b32_e32 v14, s23
	v_add_co_u32_e32 v5, vcc, s22, v5
	v_addc_co_u32_e32 v6, vcc, v14, v6, vcc
	global_load_dwordx2 v[14:15], v[5:6], off
	v_add_u32_e32 v7, 64, v7
	v_cmp_le_i32_e32 vcc, s31, v7
	s_or_b64 s[24:25], vcc, s[24:25]
	v_add_u32_e32 v4, s28, v4
	s_waitcnt vmcnt(1)
	v_mul_f32_e64 v16, v13, -v3
	v_mul_f32_e32 v13, v2, v13
	v_fmac_f32_e32 v16, v2, v12
	v_fmac_f32_e32 v13, v3, v12
	s_waitcnt vmcnt(0)
	v_sub_f32_e32 v12, v14, v16
	v_sub_f32_e32 v13, v15, v13
	global_store_dwordx2 v[5:6], v[12:13], off
	s_andn2_b64 exec, exec, s[24:25]
	s_cbranch_execz .LBB46_31
.LBB46_27:                              ;   Parent Loop BB46_20 Depth=1
                                        ; =>  This Inner Loop Header: Depth=2
	s_and_b64 vcc, exec, s[14:15]
	s_cbranch_vccz .LBB46_29
; %bb.28:                               ;   in Loop: Header=BB46_27 Depth=2
	v_add_u32_e32 v5, s29, v7
	s_cbranch_execnz .LBB46_26
	s_branch .LBB46_30
.LBB46_29:                              ;   in Loop: Header=BB46_27 Depth=2
                                        ; implicit-def: $vgpr5
.LBB46_30:                              ;   in Loop: Header=BB46_27 Depth=2
	v_add_u32_e32 v5, s13, v7
	v_mul_lo_u32 v5, v5, s34
	v_add_u32_e32 v5, s31, v5
	s_branch .LBB46_26
.LBB46_31:                              ;   in Loop: Header=BB46_20 Depth=1
	s_or_b64 exec, exec, s[4:5]
; %bb.32:                               ;   in Loop: Header=BB46_20 Depth=1
	s_sub_i32 s29, s29, s34
	s_cmp_lt_i32 s30, 2
	s_cbranch_scc1 .LBB46_34
; %bb.33:                               ;   in Loop: Header=BB46_20 Depth=1
	s_mov_b32 s30, s31
	s_mov_b64 s[4:5], s[2:3]
	s_branch .LBB46_20
.LBB46_34:
	s_and_b64 s[0:1], s[2:3], exec
.LBB46_35:
	s_or_b64 exec, exec, s[18:19]
	v_cmp_eq_u32_e32 vcc, 0, v0
	s_and_b64 s[2:3], vcc, s[16:17]
	s_waitcnt vmcnt(0)
	buffer_wbinvl1_vol
	s_barrier
	s_and_saveexec_b64 s[4:5], s[2:3]
	s_cbranch_execz .LBB46_39
; %bb.36:
	s_add_i32 s2, s6, s33
	s_ashr_i32 s3, s2, 31
	s_lshl_b64 s[2:3], s[2:3], 2
	s_add_u32 s2, s8, s2
	s_addc_u32 s3, s9, s3
	v_mov_b32_e32 v0, 0
	v_mov_b32_e32 v1, 1
	global_store_dword v0, v1, s[2:3]
	s_and_b64 exec, exec, s[0:1]
	s_cbranch_execz .LBB46_39
; %bb.37:
	v_mbcnt_lo_u32_b32 v0, exec_lo, 0
	v_mbcnt_hi_u32_b32 v0, exec_hi, v0
	v_cmp_eq_u32_e32 vcc, 0, v0
	s_and_b64 exec, exec, vcc
	s_cbranch_execz .LBB46_39
; %bb.38:
	s_add_i32 s0, s6, s12
	v_mov_b32_e32 v0, 0
	v_mov_b32_e32 v1, s0
	global_atomic_smin v0, v1, s[20:21]
.LBB46_39:
	s_endpgm
	.section	.rodata,"a",@progbits
	.p2align	6, 0x0
	.amdhsa_kernel _ZN9rocsparseL24bsrsm_upper_large_kernelILj1024ELj16ELb0E21rocsparse_complex_numIfEEEviiPKiS4_PKT2_iPS5_iPiS4_S9_21rocsparse_index_base_20rocsparse_diag_type_20rocsparse_direction_
		.amdhsa_group_segment_fixed_size 0
		.amdhsa_private_segment_fixed_size 0
		.amdhsa_kernarg_size 92
		.amdhsa_user_sgpr_count 6
		.amdhsa_user_sgpr_private_segment_buffer 1
		.amdhsa_user_sgpr_dispatch_ptr 0
		.amdhsa_user_sgpr_queue_ptr 0
		.amdhsa_user_sgpr_kernarg_segment_ptr 1
		.amdhsa_user_sgpr_dispatch_id 0
		.amdhsa_user_sgpr_flat_scratch_init 0
		.amdhsa_user_sgpr_private_segment_size 0
		.amdhsa_uses_dynamic_stack 0
		.amdhsa_system_sgpr_private_segment_wavefront_offset 0
		.amdhsa_system_sgpr_workgroup_id_x 1
		.amdhsa_system_sgpr_workgroup_id_y 0
		.amdhsa_system_sgpr_workgroup_id_z 0
		.amdhsa_system_sgpr_workgroup_info 0
		.amdhsa_system_vgpr_workitem_id 0
		.amdhsa_next_free_vgpr 18
		.amdhsa_next_free_sgpr 42
		.amdhsa_reserve_vcc 1
		.amdhsa_reserve_flat_scratch 0
		.amdhsa_float_round_mode_32 0
		.amdhsa_float_round_mode_16_64 0
		.amdhsa_float_denorm_mode_32 3
		.amdhsa_float_denorm_mode_16_64 3
		.amdhsa_dx10_clamp 1
		.amdhsa_ieee_mode 1
		.amdhsa_fp16_overflow 0
		.amdhsa_exception_fp_ieee_invalid_op 0
		.amdhsa_exception_fp_denorm_src 0
		.amdhsa_exception_fp_ieee_div_zero 0
		.amdhsa_exception_fp_ieee_overflow 0
		.amdhsa_exception_fp_ieee_underflow 0
		.amdhsa_exception_fp_ieee_inexact 0
		.amdhsa_exception_int_div_zero 0
	.end_amdhsa_kernel
	.section	.text._ZN9rocsparseL24bsrsm_upper_large_kernelILj1024ELj16ELb0E21rocsparse_complex_numIfEEEviiPKiS4_PKT2_iPS5_iPiS4_S9_21rocsparse_index_base_20rocsparse_diag_type_20rocsparse_direction_,"axG",@progbits,_ZN9rocsparseL24bsrsm_upper_large_kernelILj1024ELj16ELb0E21rocsparse_complex_numIfEEEviiPKiS4_PKT2_iPS5_iPiS4_S9_21rocsparse_index_base_20rocsparse_diag_type_20rocsparse_direction_,comdat
.Lfunc_end46:
	.size	_ZN9rocsparseL24bsrsm_upper_large_kernelILj1024ELj16ELb0E21rocsparse_complex_numIfEEEviiPKiS4_PKT2_iPS5_iPiS4_S9_21rocsparse_index_base_20rocsparse_diag_type_20rocsparse_direction_, .Lfunc_end46-_ZN9rocsparseL24bsrsm_upper_large_kernelILj1024ELj16ELb0E21rocsparse_complex_numIfEEEviiPKiS4_PKT2_iPS5_iPiS4_S9_21rocsparse_index_base_20rocsparse_diag_type_20rocsparse_direction_
                                        ; -- End function
	.set _ZN9rocsparseL24bsrsm_upper_large_kernelILj1024ELj16ELb0E21rocsparse_complex_numIfEEEviiPKiS4_PKT2_iPS5_iPiS4_S9_21rocsparse_index_base_20rocsparse_diag_type_20rocsparse_direction_.num_vgpr, 18
	.set _ZN9rocsparseL24bsrsm_upper_large_kernelILj1024ELj16ELb0E21rocsparse_complex_numIfEEEviiPKiS4_PKT2_iPS5_iPiS4_S9_21rocsparse_index_base_20rocsparse_diag_type_20rocsparse_direction_.num_agpr, 0
	.set _ZN9rocsparseL24bsrsm_upper_large_kernelILj1024ELj16ELb0E21rocsparse_complex_numIfEEEviiPKiS4_PKT2_iPS5_iPiS4_S9_21rocsparse_index_base_20rocsparse_diag_type_20rocsparse_direction_.numbered_sgpr, 42
	.set _ZN9rocsparseL24bsrsm_upper_large_kernelILj1024ELj16ELb0E21rocsparse_complex_numIfEEEviiPKiS4_PKT2_iPS5_iPiS4_S9_21rocsparse_index_base_20rocsparse_diag_type_20rocsparse_direction_.num_named_barrier, 0
	.set _ZN9rocsparseL24bsrsm_upper_large_kernelILj1024ELj16ELb0E21rocsparse_complex_numIfEEEviiPKiS4_PKT2_iPS5_iPiS4_S9_21rocsparse_index_base_20rocsparse_diag_type_20rocsparse_direction_.private_seg_size, 0
	.set _ZN9rocsparseL24bsrsm_upper_large_kernelILj1024ELj16ELb0E21rocsparse_complex_numIfEEEviiPKiS4_PKT2_iPS5_iPiS4_S9_21rocsparse_index_base_20rocsparse_diag_type_20rocsparse_direction_.uses_vcc, 1
	.set _ZN9rocsparseL24bsrsm_upper_large_kernelILj1024ELj16ELb0E21rocsparse_complex_numIfEEEviiPKiS4_PKT2_iPS5_iPiS4_S9_21rocsparse_index_base_20rocsparse_diag_type_20rocsparse_direction_.uses_flat_scratch, 0
	.set _ZN9rocsparseL24bsrsm_upper_large_kernelILj1024ELj16ELb0E21rocsparse_complex_numIfEEEviiPKiS4_PKT2_iPS5_iPiS4_S9_21rocsparse_index_base_20rocsparse_diag_type_20rocsparse_direction_.has_dyn_sized_stack, 0
	.set _ZN9rocsparseL24bsrsm_upper_large_kernelILj1024ELj16ELb0E21rocsparse_complex_numIfEEEviiPKiS4_PKT2_iPS5_iPiS4_S9_21rocsparse_index_base_20rocsparse_diag_type_20rocsparse_direction_.has_recursion, 0
	.set _ZN9rocsparseL24bsrsm_upper_large_kernelILj1024ELj16ELb0E21rocsparse_complex_numIfEEEviiPKiS4_PKT2_iPS5_iPiS4_S9_21rocsparse_index_base_20rocsparse_diag_type_20rocsparse_direction_.has_indirect_call, 0
	.section	.AMDGPU.csdata,"",@progbits
; Kernel info:
; codeLenInByte = 1564
; TotalNumSgprs: 46
; NumVgprs: 18
; ScratchSize: 0
; MemoryBound: 0
; FloatMode: 240
; IeeeMode: 1
; LDSByteSize: 0 bytes/workgroup (compile time only)
; SGPRBlocks: 5
; VGPRBlocks: 4
; NumSGPRsForWavesPerEU: 46
; NumVGPRsForWavesPerEU: 18
; Occupancy: 10
; WaveLimiterHint : 1
; COMPUTE_PGM_RSRC2:SCRATCH_EN: 0
; COMPUTE_PGM_RSRC2:USER_SGPR: 6
; COMPUTE_PGM_RSRC2:TRAP_HANDLER: 0
; COMPUTE_PGM_RSRC2:TGID_X_EN: 1
; COMPUTE_PGM_RSRC2:TGID_Y_EN: 0
; COMPUTE_PGM_RSRC2:TGID_Z_EN: 0
; COMPUTE_PGM_RSRC2:TIDIG_COMP_CNT: 0
	.section	.text._ZN9rocsparseL24bsrsm_lower_large_kernelILj1024ELj16ELb0E21rocsparse_complex_numIfEEEviiPKiS4_PKT2_iPS5_iPiS4_S9_21rocsparse_index_base_20rocsparse_diag_type_20rocsparse_direction_,"axG",@progbits,_ZN9rocsparseL24bsrsm_lower_large_kernelILj1024ELj16ELb0E21rocsparse_complex_numIfEEEviiPKiS4_PKT2_iPS5_iPiS4_S9_21rocsparse_index_base_20rocsparse_diag_type_20rocsparse_direction_,comdat
	.globl	_ZN9rocsparseL24bsrsm_lower_large_kernelILj1024ELj16ELb0E21rocsparse_complex_numIfEEEviiPKiS4_PKT2_iPS5_iPiS4_S9_21rocsparse_index_base_20rocsparse_diag_type_20rocsparse_direction_ ; -- Begin function _ZN9rocsparseL24bsrsm_lower_large_kernelILj1024ELj16ELb0E21rocsparse_complex_numIfEEEviiPKiS4_PKT2_iPS5_iPiS4_S9_21rocsparse_index_base_20rocsparse_diag_type_20rocsparse_direction_
	.p2align	8
	.type	_ZN9rocsparseL24bsrsm_lower_large_kernelILj1024ELj16ELb0E21rocsparse_complex_numIfEEEviiPKiS4_PKT2_iPS5_iPiS4_S9_21rocsparse_index_base_20rocsparse_diag_type_20rocsparse_direction_,@function
_ZN9rocsparseL24bsrsm_lower_large_kernelILj1024ELj16ELb0E21rocsparse_complex_numIfEEEviiPKiS4_PKT2_iPS5_iPiS4_S9_21rocsparse_index_base_20rocsparse_diag_type_20rocsparse_direction_: ; @_ZN9rocsparseL24bsrsm_lower_large_kernelILj1024ELj16ELb0E21rocsparse_complex_numIfEEEviiPKiS4_PKT2_iPS5_iPiS4_S9_21rocsparse_index_base_20rocsparse_diag_type_20rocsparse_direction_
; %bb.0:
	s_load_dwordx2 s[24:25], s[4:5], 0x0
	s_load_dwordx4 s[16:19], s[4:5], 0x8
	s_load_dwordx4 s[8:11], s[4:5], 0x38
	s_load_dwordx2 s[20:21], s[4:5], 0x48
	v_lshrrev_b32_e32 v6, 6, v0
	v_and_b32_e32 v5, 63, v0
	s_waitcnt lgkmcnt(0)
	v_cvt_f32_u32_e32 v1, s24
	s_sub_i32 s0, 0, s24
	v_rcp_iflag_f32_e32 v1, v1
	v_mul_f32_e32 v1, 0x4f7ffffe, v1
	v_cvt_u32_f32_e32 v1, v1
	v_readfirstlane_b32 s1, v1
	s_mul_i32 s0, s0, s1
	s_mul_hi_u32 s0, s1, s0
	s_add_i32 s1, s1, s0
	s_mul_hi_u32 s0, s6, s1
	s_mul_i32 s1, s0, s24
	s_sub_i32 s1, s6, s1
	s_add_i32 s2, s0, 1
	s_sub_i32 s3, s1, s24
	s_cmp_ge_u32 s1, s24
	s_cselect_b32 s0, s2, s0
	s_cselect_b32 s1, s3, s1
	s_add_i32 s2, s0, 1
	s_cmp_ge_u32 s1, s24
	s_cselect_b32 s26, s2, s0
	s_mul_i32 s33, s26, s24
	s_sub_i32 s0, s6, s33
	s_ashr_i32 s1, s0, 31
	s_lshl_b64 s[0:1], s[0:1], 2
	s_add_u32 s0, s10, s0
	s_addc_u32 s1, s11, s1
	s_load_dword s6, s[0:1], 0x0
	s_load_dwordx2 s[10:11], s[4:5], 0x18
	s_load_dword s34, s[4:5], 0x20
	s_load_dwordx2 s[22:23], s[4:5], 0x28
	s_load_dword s35, s[4:5], 0x30
	s_load_dwordx4 s[12:15], s[4:5], 0x50
	s_waitcnt lgkmcnt(0)
	s_ashr_i32 s7, s6, 31
	s_lshl_b64 s[0:1], s[6:7], 2
	s_add_u32 s0, s16, s0
	s_addc_u32 s1, s17, s1
	s_load_dwordx2 s[2:3], s[0:1], 0x0
	s_lshl_b32 s36, s26, 4
	v_or_b32_e32 v1, s36, v6
	s_mul_i32 s7, s6, s34
	v_cmp_gt_i32_e32 vcc, s25, v1
	s_waitcnt lgkmcnt(0)
	s_sub_i32 s4, s2, s12
	s_cmp_ge_i32 s2, s3
	s_mul_i32 s37, s34, s34
	v_cmp_eq_u32_e64 s[0:1], 0, v0
	s_cbranch_scc1 .LBB47_17
; %bb.1:
	s_mul_i32 s5, s34, s4
	v_add_u32_e32 v2, s5, v5
	v_mul_lo_u32 v8, s34, v2
	s_sub_i32 s15, s3, s12
	v_cmp_gt_i32_e64 s[2:3], s34, v5
	s_cmp_lg_u32 s14, 0
	s_cselect_b64 s[16:17], -1, 0
	s_and_b64 s[2:3], vcc, s[2:3]
	v_add_u32_e32 v7, s36, v6
	s_mul_i32 s38, s35, s34
	s_lshl_b32 s39, s34, 6
	v_mov_b32_e32 v9, 0
	s_branch .LBB47_3
.LBB47_2:                               ;   in Loop: Header=BB47_3 Depth=1
                                        ; implicit-def: $vgpr8
	s_and_b64 vcc, exec, s[26:27]
	s_cbranch_vccnz .LBB47_18
.LBB47_3:                               ; =>This Loop Header: Depth=1
                                        ;     Child Loop BB47_6 Depth 2
                                        ;     Child Loop BB47_10 Depth 2
                                        ;       Child Loop BB47_12 Depth 3
	s_ashr_i32 s5, s4, 31
	s_lshl_b64 s[26:27], s[4:5], 2
	s_add_u32 s26, s18, s26
	s_addc_u32 s27, s19, s27
	global_load_dword v2, v9, s[26:27]
	s_mov_b64 s[26:27], -1
	s_waitcnt vmcnt(0)
	v_readfirstlane_b32 s5, v2
	s_sub_i32 s5, s5, s12
	s_cmp_ge_i32 s5, s6
	s_cbranch_scc1 .LBB47_2
; %bb.4:                                ;   in Loop: Header=BB47_3 Depth=1
	s_and_saveexec_b64 s[26:27], s[0:1]
	s_cbranch_execz .LBB47_7
; %bb.5:                                ;   in Loop: Header=BB47_3 Depth=1
	s_add_i32 s28, s5, s33
	s_ashr_i32 s29, s28, 31
	s_lshl_b64 s[28:29], s[28:29], 2
	s_add_u32 s28, s8, s28
	s_addc_u32 s29, s9, s29
	global_load_dword v2, v9, s[28:29] glc
	s_waitcnt vmcnt(0)
	v_cmp_ne_u32_e32 vcc, 0, v2
	s_cbranch_vccnz .LBB47_7
.LBB47_6:                               ;   Parent Loop BB47_3 Depth=1
                                        ; =>  This Inner Loop Header: Depth=2
	global_load_dword v2, v9, s[28:29] glc
	s_waitcnt vmcnt(0)
	v_cmp_eq_u32_e32 vcc, 0, v2
	s_cbranch_vccnz .LBB47_6
.LBB47_7:                               ;   in Loop: Header=BB47_3 Depth=1
	s_or_b64 exec, exec, s[26:27]
	buffer_wbinvl1_vol
	s_barrier
	s_and_saveexec_b64 s[26:27], s[2:3]
	s_cbranch_execz .LBB47_16
; %bb.8:                                ;   in Loop: Header=BB47_3 Depth=1
	s_mul_i32 s28, s38, s5
	s_mul_i32 s40, s4, s34
	v_add_u32_e32 v10, s28, v7
	s_mov_b64 s[28:29], 0
	v_mov_b32_e32 v11, v8
	v_mov_b32_e32 v12, v5
	s_branch .LBB47_10
.LBB47_9:                               ;   in Loop: Header=BB47_10 Depth=2
	v_add_u32_e32 v2, s7, v12
	v_mad_u64_u32 v[2:3], s[30:31], v2, s35, v[1:2]
	v_mov_b32_e32 v4, s23
	v_add_u32_e32 v12, 64, v12
	v_ashrrev_i32_e32 v3, 31, v2
	v_lshlrev_b64 v[2:3], 3, v[2:3]
	v_add_u32_e32 v11, s39, v11
	v_add_co_u32_e32 v2, vcc, s22, v2
	v_addc_co_u32_e32 v3, vcc, v4, v3, vcc
	global_load_dwordx2 v[15:16], v[2:3], off
	v_cmp_le_i32_e32 vcc, s34, v12
	s_or_b64 s[28:29], vcc, s[28:29]
	s_waitcnt vmcnt(0)
	v_sub_f32_e32 v14, v15, v14
	v_sub_f32_e32 v15, v16, v13
	global_store_dwordx2 v[2:3], v[14:15], off
	s_andn2_b64 exec, exec, s[28:29]
	s_cbranch_execz .LBB47_16
.LBB47_10:                              ;   Parent Loop BB47_3 Depth=1
                                        ; =>  This Loop Header: Depth=2
                                        ;       Child Loop BB47_12 Depth 3
	v_mov_b32_e32 v13, 0
	s_mov_b32 s41, 0
	v_mov_b32_e32 v2, v10
	v_mov_b32_e32 v14, 0
	s_branch .LBB47_12
.LBB47_11:                              ;   in Loop: Header=BB47_12 Depth=3
	v_ashrrev_i32_e32 v4, 31, v3
	v_lshlrev_b64 v[3:4], 3, v[3:4]
	v_mov_b32_e32 v15, s11
	v_add_co_u32_e32 v3, vcc, s10, v3
	v_addc_co_u32_e32 v4, vcc, v15, v4, vcc
	global_load_dwordx2 v[15:16], v[3:4], off
	v_ashrrev_i32_e32 v3, 31, v2
	v_lshlrev_b64 v[3:4], 3, v[2:3]
	v_mov_b32_e32 v17, s23
	v_add_co_u32_e32 v3, vcc, s22, v3
	v_addc_co_u32_e32 v4, vcc, v17, v4, vcc
	global_load_dwordx2 v[3:4], v[3:4], off
	s_add_i32 s41, s41, 1
	s_cmp_eq_u32 s34, s41
	v_add_u32_e32 v2, s35, v2
	s_waitcnt vmcnt(0)
	v_fmac_f32_e32 v14, v15, v3
	v_fmac_f32_e32 v13, v16, v3
	v_fma_f32 v14, -v16, v4, v14
	v_fmac_f32_e32 v13, v15, v4
	s_cbranch_scc1 .LBB47_9
.LBB47_12:                              ;   Parent Loop BB47_3 Depth=1
                                        ;     Parent Loop BB47_10 Depth=2
                                        ; =>    This Inner Loop Header: Depth=3
	s_and_b64 vcc, exec, s[16:17]
	s_cbranch_vccz .LBB47_14
; %bb.13:                               ;   in Loop: Header=BB47_12 Depth=3
	s_add_i32 s30, s41, s40
	s_mul_i32 s30, s30, s34
	v_add_u32_e32 v3, s30, v12
	s_cbranch_execnz .LBB47_11
	s_branch .LBB47_15
.LBB47_14:                              ;   in Loop: Header=BB47_12 Depth=3
                                        ; implicit-def: $vgpr3
.LBB47_15:                              ;   in Loop: Header=BB47_12 Depth=3
	v_add_u32_e32 v3, s41, v11
	s_branch .LBB47_11
.LBB47_16:                              ;   in Loop: Header=BB47_3 Depth=1
	s_or_b64 exec, exec, s[26:27]
	s_add_i32 s4, s4, 1
	s_cmp_ge_i32 s4, s15
	v_add_u32_e32 v8, s37, v8
	s_cselect_b64 s[26:27], -1, 0
	s_and_b64 vcc, exec, s[26:27]
	s_cbranch_vccz .LBB47_3
	s_branch .LBB47_18
.LBB47_17:
	s_mov_b32 s5, s24
.LBB47_18:
	s_cmp_lt_i32 s6, s24
	s_cselect_b64 s[16:17], -1, 0
	s_cmp_eq_u32 s6, s5
	s_cselect_b64 s[0:1], -1, 0
	s_and_b64 s[0:1], s[16:17], s[0:1]
	v_cmp_gt_i32_e32 vcc, s25, v1
	s_and_b64 s[0:1], s[0:1], vcc
	s_cmp_gt_i32 s34, 0
	s_cselect_b64 s[2:3], -1, 0
	s_mov_b32 s28, 0
	s_and_b64 s[2:3], s[0:1], s[2:3]
	s_mov_b64 s[0:1], 0
	s_and_saveexec_b64 s[18:19], s[2:3]
	s_cbranch_execz .LBB47_33
; %bb.19:
	v_add_u32_e32 v2, s7, v5
	v_mul_lo_u32 v2, s35, v2
	s_cmp_eq_u32 s13, 0
	s_cselect_b64 s[0:1], -1, 0
	s_cmp_lg_u32 s14, 0
	v_add_u32_e32 v2, s35, v2
	v_add3_u32 v9, v6, v2, s36
	v_cndmask_b32_e64 v2, 0, 1, s[0:1]
	s_cselect_b64 s[14:15], -1, 0
	v_add_u32_e32 v8, 1, v5
	s_mul_i32 s13, s4, s34
	s_lshl_b32 s29, s35, 6
	s_mul_i32 s30, s4, s37
	s_add_i32 s31, s34, 1
	s_mov_b64 s[4:5], 0
	v_cmp_ne_u32_e64 s[0:1], 1, v2
	v_mov_b32_e32 v10, 0
	v_mov_b32_e32 v11, s23
	v_mov_b32_e32 v4, 1.0
	s_and_b64 vcc, exec, s[0:1]
	v_mov_b32_e32 v5, 0
	s_cbranch_vccnz .LBB47_21
.LBB47_20:
	s_add_i32 s2, s28, s13
	s_mul_i32 s2, s2, s34
	s_add_i32 s2, s2, s28
	s_ashr_i32 s3, s2, 31
	s_lshl_b64 s[2:3], s[2:3], 3
	s_add_u32 s2, s10, s2
	s_addc_u32 s3, s11, s3
	global_load_dwordx2 v[4:5], v10, s[2:3]
.LBB47_21:                              ; =>This Loop Header: Depth=1
                                        ;     Child Loop BB47_26 Depth 2
	s_add_i32 s2, s28, s7
	s_mul_i32 s2, s2, s35
	s_waitcnt vmcnt(0)
	v_add_u32_e32 v2, s2, v1
	v_ashrrev_i32_e32 v3, 31, v2
	v_lshlrev_b64 v[2:3], 3, v[2:3]
	s_waitcnt vmcnt(0)
	v_cmp_eq_f32_e64 s[2:3], 0, v5
	v_add_co_u32_e32 v6, vcc, s22, v2
	v_addc_co_u32_e32 v7, vcc, v11, v3, vcc
	global_load_dwordx2 v[2:3], v[6:7], off
	v_cmp_eq_f32_e32 vcc, 0, v4
	s_and_b64 s[24:25], vcc, s[2:3]
	s_mov_b64 s[2:3], -1
	s_and_b64 vcc, exec, s[24:25]
	s_cbranch_vccnz .LBB47_23
; %bb.22:                               ;   in Loop: Header=BB47_21 Depth=1
	v_mul_f32_e32 v12, v5, v5
	v_fmac_f32_e32 v12, v4, v4
	v_div_scale_f32 v13, s[2:3], v12, v12, 1.0
	v_div_scale_f32 v14, vcc, 1.0, v12, 1.0
	s_mov_b64 s[2:3], s[4:5]
	v_rcp_f32_e32 v15, v13
	v_fma_f32 v16, -v13, v15, 1.0
	v_fmac_f32_e32 v15, v16, v15
	v_mul_f32_e32 v16, v14, v15
	v_fma_f32 v17, -v13, v16, v14
	v_fmac_f32_e32 v16, v17, v15
	v_fma_f32 v13, -v13, v16, v14
	v_div_fmas_f32 v13, v13, v15, v16
	s_waitcnt vmcnt(0)
	v_mul_f32_e32 v14, v5, v3
	v_mul_f32_e64 v5, v5, -v2
	v_fmac_f32_e32 v14, v2, v4
	v_fmac_f32_e32 v5, v3, v4
	v_div_fixup_f32 v3, v13, v12, 1.0
	v_mul_f32_e32 v2, v3, v14
	v_mul_f32_e32 v3, v3, v5
	global_store_dwordx2 v[6:7], v[2:3], off
.LBB47_23:                              ;   in Loop: Header=BB47_21 Depth=1
	v_add_u32_e32 v7, s28, v8
	v_cmp_gt_i32_e32 vcc, s34, v7
	s_and_saveexec_b64 s[4:5], vcc
	s_cbranch_execz .LBB47_30
; %bb.24:                               ;   in Loop: Header=BB47_21 Depth=1
	s_mov_b64 s[24:25], 0
	v_mov_b32_e32 v4, v9
	v_mov_b32_e32 v12, v8
	s_branch .LBB47_26
.LBB47_25:                              ;   in Loop: Header=BB47_26 Depth=2
	v_ashrrev_i32_e32 v6, 31, v5
	v_lshlrev_b64 v[5:6], 3, v[5:6]
	v_mov_b32_e32 v13, s11
	v_add_co_u32_e32 v5, vcc, s10, v5
	v_addc_co_u32_e32 v6, vcc, v13, v6, vcc
	global_load_dwordx2 v[13:14], v[5:6], off
	v_ashrrev_i32_e32 v5, 31, v4
	v_lshlrev_b64 v[5:6], 3, v[4:5]
	v_mov_b32_e32 v15, s23
	v_add_co_u32_e32 v5, vcc, s22, v5
	v_addc_co_u32_e32 v6, vcc, v15, v6, vcc
	global_load_dwordx2 v[15:16], v[5:6], off
	v_add_u32_e32 v12, 64, v12
	v_add_u32_e32 v17, s28, v12
	v_cmp_le_i32_e32 vcc, s34, v17
	v_add_u32_e32 v7, 64, v7
	s_or_b64 s[24:25], vcc, s[24:25]
	v_add_u32_e32 v4, s29, v4
	s_waitcnt vmcnt(1)
	v_mul_f32_e64 v17, v14, -v3
	v_mul_f32_e32 v14, v2, v14
	v_fmac_f32_e32 v17, v2, v13
	v_fmac_f32_e32 v14, v3, v13
	s_waitcnt vmcnt(0)
	v_sub_f32_e32 v13, v15, v17
	v_sub_f32_e32 v14, v16, v14
	global_store_dwordx2 v[5:6], v[13:14], off
	s_andn2_b64 exec, exec, s[24:25]
	s_cbranch_execz .LBB47_30
.LBB47_26:                              ;   Parent Loop BB47_21 Depth=1
                                        ; =>  This Inner Loop Header: Depth=2
	s_and_b64 vcc, exec, s[14:15]
	s_cbranch_vccz .LBB47_28
; %bb.27:                               ;   in Loop: Header=BB47_26 Depth=2
	v_add_u32_e32 v5, s30, v12
	s_cbranch_execnz .LBB47_25
	s_branch .LBB47_29
.LBB47_28:                              ;   in Loop: Header=BB47_26 Depth=2
                                        ; implicit-def: $vgpr5
.LBB47_29:                              ;   in Loop: Header=BB47_26 Depth=2
	v_add_u32_e32 v5, s13, v7
	v_mul_lo_u32 v5, v5, s34
	v_add_u32_e32 v5, s28, v5
	s_branch .LBB47_25
.LBB47_30:                              ;   in Loop: Header=BB47_21 Depth=1
	s_or_b64 exec, exec, s[4:5]
	s_add_i32 s28, s28, 1
	s_add_i32 s30, s30, s31
	s_cmp_eq_u32 s28, s34
	v_add_u32_e32 v9, s35, v9
	s_cbranch_scc1 .LBB47_32
; %bb.31:                               ;   in Loop: Header=BB47_21 Depth=1
	s_mov_b64 s[4:5], s[2:3]
	v_mov_b32_e32 v4, 1.0
	s_and_b64 vcc, exec, s[0:1]
	v_mov_b32_e32 v5, 0
	s_cbranch_vccnz .LBB47_21
	s_branch .LBB47_20
.LBB47_32:
	s_and_b64 s[0:1], s[2:3], exec
.LBB47_33:
	s_or_b64 exec, exec, s[18:19]
	v_cmp_eq_u32_e32 vcc, 0, v0
	s_and_b64 s[2:3], vcc, s[16:17]
	s_waitcnt vmcnt(0)
	buffer_wbinvl1_vol
	s_barrier
	s_and_saveexec_b64 s[4:5], s[2:3]
	s_cbranch_execz .LBB47_37
; %bb.34:
	s_add_i32 s2, s6, s33
	s_ashr_i32 s3, s2, 31
	s_lshl_b64 s[2:3], s[2:3], 2
	s_add_u32 s2, s8, s2
	s_addc_u32 s3, s9, s3
	v_mov_b32_e32 v0, 0
	v_mov_b32_e32 v1, 1
	global_store_dword v0, v1, s[2:3]
	s_and_b64 exec, exec, s[0:1]
	s_cbranch_execz .LBB47_37
; %bb.35:
	v_mbcnt_lo_u32_b32 v0, exec_lo, 0
	v_mbcnt_hi_u32_b32 v0, exec_hi, v0
	v_cmp_eq_u32_e32 vcc, 0, v0
	s_and_b64 exec, exec, vcc
	s_cbranch_execz .LBB47_37
; %bb.36:
	s_add_i32 s0, s6, s12
	v_mov_b32_e32 v0, 0
	v_mov_b32_e32 v1, s0
	global_atomic_smin v0, v1, s[20:21]
.LBB47_37:
	s_endpgm
	.section	.rodata,"a",@progbits
	.p2align	6, 0x0
	.amdhsa_kernel _ZN9rocsparseL24bsrsm_lower_large_kernelILj1024ELj16ELb0E21rocsparse_complex_numIfEEEviiPKiS4_PKT2_iPS5_iPiS4_S9_21rocsparse_index_base_20rocsparse_diag_type_20rocsparse_direction_
		.amdhsa_group_segment_fixed_size 0
		.amdhsa_private_segment_fixed_size 0
		.amdhsa_kernarg_size 92
		.amdhsa_user_sgpr_count 6
		.amdhsa_user_sgpr_private_segment_buffer 1
		.amdhsa_user_sgpr_dispatch_ptr 0
		.amdhsa_user_sgpr_queue_ptr 0
		.amdhsa_user_sgpr_kernarg_segment_ptr 1
		.amdhsa_user_sgpr_dispatch_id 0
		.amdhsa_user_sgpr_flat_scratch_init 0
		.amdhsa_user_sgpr_private_segment_size 0
		.amdhsa_uses_dynamic_stack 0
		.amdhsa_system_sgpr_private_segment_wavefront_offset 0
		.amdhsa_system_sgpr_workgroup_id_x 1
		.amdhsa_system_sgpr_workgroup_id_y 0
		.amdhsa_system_sgpr_workgroup_id_z 0
		.amdhsa_system_sgpr_workgroup_info 0
		.amdhsa_system_vgpr_workitem_id 0
		.amdhsa_next_free_vgpr 18
		.amdhsa_next_free_sgpr 42
		.amdhsa_reserve_vcc 1
		.amdhsa_reserve_flat_scratch 0
		.amdhsa_float_round_mode_32 0
		.amdhsa_float_round_mode_16_64 0
		.amdhsa_float_denorm_mode_32 3
		.amdhsa_float_denorm_mode_16_64 3
		.amdhsa_dx10_clamp 1
		.amdhsa_ieee_mode 1
		.amdhsa_fp16_overflow 0
		.amdhsa_exception_fp_ieee_invalid_op 0
		.amdhsa_exception_fp_denorm_src 0
		.amdhsa_exception_fp_ieee_div_zero 0
		.amdhsa_exception_fp_ieee_overflow 0
		.amdhsa_exception_fp_ieee_underflow 0
		.amdhsa_exception_fp_ieee_inexact 0
		.amdhsa_exception_int_div_zero 0
	.end_amdhsa_kernel
	.section	.text._ZN9rocsparseL24bsrsm_lower_large_kernelILj1024ELj16ELb0E21rocsparse_complex_numIfEEEviiPKiS4_PKT2_iPS5_iPiS4_S9_21rocsparse_index_base_20rocsparse_diag_type_20rocsparse_direction_,"axG",@progbits,_ZN9rocsparseL24bsrsm_lower_large_kernelILj1024ELj16ELb0E21rocsparse_complex_numIfEEEviiPKiS4_PKT2_iPS5_iPiS4_S9_21rocsparse_index_base_20rocsparse_diag_type_20rocsparse_direction_,comdat
.Lfunc_end47:
	.size	_ZN9rocsparseL24bsrsm_lower_large_kernelILj1024ELj16ELb0E21rocsparse_complex_numIfEEEviiPKiS4_PKT2_iPS5_iPiS4_S9_21rocsparse_index_base_20rocsparse_diag_type_20rocsparse_direction_, .Lfunc_end47-_ZN9rocsparseL24bsrsm_lower_large_kernelILj1024ELj16ELb0E21rocsparse_complex_numIfEEEviiPKiS4_PKT2_iPS5_iPiS4_S9_21rocsparse_index_base_20rocsparse_diag_type_20rocsparse_direction_
                                        ; -- End function
	.set _ZN9rocsparseL24bsrsm_lower_large_kernelILj1024ELj16ELb0E21rocsparse_complex_numIfEEEviiPKiS4_PKT2_iPS5_iPiS4_S9_21rocsparse_index_base_20rocsparse_diag_type_20rocsparse_direction_.num_vgpr, 18
	.set _ZN9rocsparseL24bsrsm_lower_large_kernelILj1024ELj16ELb0E21rocsparse_complex_numIfEEEviiPKiS4_PKT2_iPS5_iPiS4_S9_21rocsparse_index_base_20rocsparse_diag_type_20rocsparse_direction_.num_agpr, 0
	.set _ZN9rocsparseL24bsrsm_lower_large_kernelILj1024ELj16ELb0E21rocsparse_complex_numIfEEEviiPKiS4_PKT2_iPS5_iPiS4_S9_21rocsparse_index_base_20rocsparse_diag_type_20rocsparse_direction_.numbered_sgpr, 42
	.set _ZN9rocsparseL24bsrsm_lower_large_kernelILj1024ELj16ELb0E21rocsparse_complex_numIfEEEviiPKiS4_PKT2_iPS5_iPiS4_S9_21rocsparse_index_base_20rocsparse_diag_type_20rocsparse_direction_.num_named_barrier, 0
	.set _ZN9rocsparseL24bsrsm_lower_large_kernelILj1024ELj16ELb0E21rocsparse_complex_numIfEEEviiPKiS4_PKT2_iPS5_iPiS4_S9_21rocsparse_index_base_20rocsparse_diag_type_20rocsparse_direction_.private_seg_size, 0
	.set _ZN9rocsparseL24bsrsm_lower_large_kernelILj1024ELj16ELb0E21rocsparse_complex_numIfEEEviiPKiS4_PKT2_iPS5_iPiS4_S9_21rocsparse_index_base_20rocsparse_diag_type_20rocsparse_direction_.uses_vcc, 1
	.set _ZN9rocsparseL24bsrsm_lower_large_kernelILj1024ELj16ELb0E21rocsparse_complex_numIfEEEviiPKiS4_PKT2_iPS5_iPiS4_S9_21rocsparse_index_base_20rocsparse_diag_type_20rocsparse_direction_.uses_flat_scratch, 0
	.set _ZN9rocsparseL24bsrsm_lower_large_kernelILj1024ELj16ELb0E21rocsparse_complex_numIfEEEviiPKiS4_PKT2_iPS5_iPiS4_S9_21rocsparse_index_base_20rocsparse_diag_type_20rocsparse_direction_.has_dyn_sized_stack, 0
	.set _ZN9rocsparseL24bsrsm_lower_large_kernelILj1024ELj16ELb0E21rocsparse_complex_numIfEEEviiPKiS4_PKT2_iPS5_iPiS4_S9_21rocsparse_index_base_20rocsparse_diag_type_20rocsparse_direction_.has_recursion, 0
	.set _ZN9rocsparseL24bsrsm_lower_large_kernelILj1024ELj16ELb0E21rocsparse_complex_numIfEEEviiPKiS4_PKT2_iPS5_iPiS4_S9_21rocsparse_index_base_20rocsparse_diag_type_20rocsparse_direction_.has_indirect_call, 0
	.section	.AMDGPU.csdata,"",@progbits
; Kernel info:
; codeLenInByte = 1584
; TotalNumSgprs: 46
; NumVgprs: 18
; ScratchSize: 0
; MemoryBound: 0
; FloatMode: 240
; IeeeMode: 1
; LDSByteSize: 0 bytes/workgroup (compile time only)
; SGPRBlocks: 5
; VGPRBlocks: 4
; NumSGPRsForWavesPerEU: 46
; NumVGPRsForWavesPerEU: 18
; Occupancy: 10
; WaveLimiterHint : 1
; COMPUTE_PGM_RSRC2:SCRATCH_EN: 0
; COMPUTE_PGM_RSRC2:USER_SGPR: 6
; COMPUTE_PGM_RSRC2:TRAP_HANDLER: 0
; COMPUTE_PGM_RSRC2:TGID_X_EN: 1
; COMPUTE_PGM_RSRC2:TGID_Y_EN: 0
; COMPUTE_PGM_RSRC2:TGID_Z_EN: 0
; COMPUTE_PGM_RSRC2:TIDIG_COMP_CNT: 0
	.section	.text._ZN9rocsparseL16bsrsm_copy_scaleILj1024E21rocsparse_complex_numIdEEEviiNS_24const_host_device_scalarIT0_EEPKS4_lPS4_lb,"axG",@progbits,_ZN9rocsparseL16bsrsm_copy_scaleILj1024E21rocsparse_complex_numIdEEEviiNS_24const_host_device_scalarIT0_EEPKS4_lPS4_lb,comdat
	.globl	_ZN9rocsparseL16bsrsm_copy_scaleILj1024E21rocsparse_complex_numIdEEEviiNS_24const_host_device_scalarIT0_EEPKS4_lPS4_lb ; -- Begin function _ZN9rocsparseL16bsrsm_copy_scaleILj1024E21rocsparse_complex_numIdEEEviiNS_24const_host_device_scalarIT0_EEPKS4_lPS4_lb
	.p2align	8
	.type	_ZN9rocsparseL16bsrsm_copy_scaleILj1024E21rocsparse_complex_numIdEEEviiNS_24const_host_device_scalarIT0_EEPKS4_lPS4_lb,@function
_ZN9rocsparseL16bsrsm_copy_scaleILj1024E21rocsparse_complex_numIdEEEviiNS_24const_host_device_scalarIT0_EEPKS4_lPS4_lb: ; @_ZN9rocsparseL16bsrsm_copy_scaleILj1024E21rocsparse_complex_numIdEEEviiNS_24const_host_device_scalarIT0_EEPKS4_lPS4_lb
; %bb.0:
	s_add_u32 flat_scratch_lo, s6, s9
	s_addc_u32 flat_scratch_hi, s7, 0
	s_mov_b64 s[6:7], src_private_base
	s_load_dword s6, s[4:5], 0x38
	s_load_dwordx8 s[12:19], s[4:5], 0x8
	s_add_u32 s0, s0, s9
	s_addc_u32 s1, s1, 0
	s_waitcnt lgkmcnt(0)
	s_bitcmp1_b32 s6, 0
	s_cselect_b64 s[10:11], -1, 0
	v_mov_b32_e32 v1, s13
	s_and_b64 vcc, s[10:11], exec
	buffer_store_dword v1, off, s[0:3], 0 offset:4
	v_mov_b32_e32 v1, s12
	s_cselect_b32 s6, s7, s13
	s_cselect_b32 s7, 0, s12
	buffer_store_dword v1, off, s[0:3], 0
	v_mov_b32_e32 v1, s7
	v_mov_b32_e32 v2, s6
	flat_load_dwordx2 v[1:2], v[1:2]
	v_mov_b32_e32 v3, s14
	v_mov_b32_e32 v4, s15
	s_cbranch_vccnz .LBB48_2
; %bb.1:
	v_mov_b32_e32 v3, s12
	v_mov_b32_e32 v4, s13
	flat_load_dwordx2 v[3:4], v[3:4] offset:8
.LBB48_2:
	s_load_dword s9, s[4:5], 0x4c
	s_load_dwordx2 s[6:7], s[4:5], 0x0
	s_waitcnt lgkmcnt(0)
	s_and_b32 s9, s9, 0xffff
	s_mul_i32 s8, s8, s9
	s_cmp_gt_i32 s7, 0
	v_add_u32_e32 v0, s8, v0
	v_cmp_gt_i32_e32 vcc, s6, v0
	s_cselect_b64 s[8:9], -1, 0
	s_and_b64 s[8:9], s[8:9], vcc
	s_and_saveexec_b64 s[10:11], s[8:9]
	s_cbranch_execz .LBB48_5
; %bb.3:
	v_ashrrev_i32_e32 v7, 31, v0
	v_mul_lo_u32 v8, s19, v0
	v_mul_lo_u32 v9, s18, v7
	v_mad_u64_u32 v[5:6], s[8:9], s18, v0, 0
	s_load_dwordx4 s[8:11], s[4:5], 0x28
	v_add3_u32 v6, v6, v9, v8
	v_lshlrev_b64 v[5:6], 4, v[5:6]
	v_mov_b32_e32 v8, s17
	v_add_co_u32_e32 v5, vcc, s16, v5
	v_addc_co_u32_e32 v6, vcc, v8, v6, vcc
	s_waitcnt lgkmcnt(0)
	v_mul_lo_u32 v9, s11, v0
	v_mul_lo_u32 v10, s10, v7
	v_mad_u64_u32 v[7:8], s[4:5], s10, v0, 0
	v_add_co_u32_e32 v5, vcc, 8, v5
	v_add3_u32 v8, v8, v10, v9
	v_lshlrev_b64 v[7:8], 4, v[7:8]
	v_addc_co_u32_e32 v6, vcc, 0, v6, vcc
	v_mov_b32_e32 v0, s9
	v_add_co_u32_e32 v7, vcc, s8, v7
	v_addc_co_u32_e32 v0, vcc, v0, v8, vcc
	v_add_co_u32_e32 v7, vcc, 8, v7
	v_addc_co_u32_e32 v8, vcc, 0, v0, vcc
.LBB48_4:                               ; =>This Inner Loop Header: Depth=1
	global_load_dwordx4 v[9:12], v[5:6], off offset:-8
	v_add_co_u32_e32 v5, vcc, 16, v5
	v_addc_co_u32_e32 v6, vcc, 0, v6, vcc
	s_add_i32 s7, s7, -1
	s_cmp_lg_u32 s7, 0
	s_waitcnt vmcnt(0)
	v_mul_f64 v[13:14], v[11:12], -v[3:4]
	v_mul_f64 v[15:16], v[1:2], v[11:12]
	v_fma_f64 v[11:12], v[1:2], v[9:10], v[13:14]
	v_fma_f64 v[13:14], v[3:4], v[9:10], v[15:16]
	global_store_dwordx4 v[7:8], v[11:14], off offset:-8
	v_add_co_u32_e32 v7, vcc, 16, v7
	v_addc_co_u32_e32 v8, vcc, 0, v8, vcc
	s_cbranch_scc1 .LBB48_4
.LBB48_5:
	s_endpgm
	.section	.rodata,"a",@progbits
	.p2align	6, 0x0
	.amdhsa_kernel _ZN9rocsparseL16bsrsm_copy_scaleILj1024E21rocsparse_complex_numIdEEEviiNS_24const_host_device_scalarIT0_EEPKS4_lPS4_lb
		.amdhsa_group_segment_fixed_size 0
		.amdhsa_private_segment_fixed_size 16
		.amdhsa_kernarg_size 320
		.amdhsa_user_sgpr_count 8
		.amdhsa_user_sgpr_private_segment_buffer 1
		.amdhsa_user_sgpr_dispatch_ptr 0
		.amdhsa_user_sgpr_queue_ptr 0
		.amdhsa_user_sgpr_kernarg_segment_ptr 1
		.amdhsa_user_sgpr_dispatch_id 0
		.amdhsa_user_sgpr_flat_scratch_init 1
		.amdhsa_user_sgpr_private_segment_size 0
		.amdhsa_uses_dynamic_stack 0
		.amdhsa_system_sgpr_private_segment_wavefront_offset 1
		.amdhsa_system_sgpr_workgroup_id_x 1
		.amdhsa_system_sgpr_workgroup_id_y 0
		.amdhsa_system_sgpr_workgroup_id_z 0
		.amdhsa_system_sgpr_workgroup_info 0
		.amdhsa_system_vgpr_workitem_id 0
		.amdhsa_next_free_vgpr 17
		.amdhsa_next_free_sgpr 20
		.amdhsa_reserve_vcc 1
		.amdhsa_reserve_flat_scratch 1
		.amdhsa_float_round_mode_32 0
		.amdhsa_float_round_mode_16_64 0
		.amdhsa_float_denorm_mode_32 3
		.amdhsa_float_denorm_mode_16_64 3
		.amdhsa_dx10_clamp 1
		.amdhsa_ieee_mode 1
		.amdhsa_fp16_overflow 0
		.amdhsa_exception_fp_ieee_invalid_op 0
		.amdhsa_exception_fp_denorm_src 0
		.amdhsa_exception_fp_ieee_div_zero 0
		.amdhsa_exception_fp_ieee_overflow 0
		.amdhsa_exception_fp_ieee_underflow 0
		.amdhsa_exception_fp_ieee_inexact 0
		.amdhsa_exception_int_div_zero 0
	.end_amdhsa_kernel
	.section	.text._ZN9rocsparseL16bsrsm_copy_scaleILj1024E21rocsparse_complex_numIdEEEviiNS_24const_host_device_scalarIT0_EEPKS4_lPS4_lb,"axG",@progbits,_ZN9rocsparseL16bsrsm_copy_scaleILj1024E21rocsparse_complex_numIdEEEviiNS_24const_host_device_scalarIT0_EEPKS4_lPS4_lb,comdat
.Lfunc_end48:
	.size	_ZN9rocsparseL16bsrsm_copy_scaleILj1024E21rocsparse_complex_numIdEEEviiNS_24const_host_device_scalarIT0_EEPKS4_lPS4_lb, .Lfunc_end48-_ZN9rocsparseL16bsrsm_copy_scaleILj1024E21rocsparse_complex_numIdEEEviiNS_24const_host_device_scalarIT0_EEPKS4_lPS4_lb
                                        ; -- End function
	.set _ZN9rocsparseL16bsrsm_copy_scaleILj1024E21rocsparse_complex_numIdEEEviiNS_24const_host_device_scalarIT0_EEPKS4_lPS4_lb.num_vgpr, 17
	.set _ZN9rocsparseL16bsrsm_copy_scaleILj1024E21rocsparse_complex_numIdEEEviiNS_24const_host_device_scalarIT0_EEPKS4_lPS4_lb.num_agpr, 0
	.set _ZN9rocsparseL16bsrsm_copy_scaleILj1024E21rocsparse_complex_numIdEEEviiNS_24const_host_device_scalarIT0_EEPKS4_lPS4_lb.numbered_sgpr, 20
	.set _ZN9rocsparseL16bsrsm_copy_scaleILj1024E21rocsparse_complex_numIdEEEviiNS_24const_host_device_scalarIT0_EEPKS4_lPS4_lb.num_named_barrier, 0
	.set _ZN9rocsparseL16bsrsm_copy_scaleILj1024E21rocsparse_complex_numIdEEEviiNS_24const_host_device_scalarIT0_EEPKS4_lPS4_lb.private_seg_size, 16
	.set _ZN9rocsparseL16bsrsm_copy_scaleILj1024E21rocsparse_complex_numIdEEEviiNS_24const_host_device_scalarIT0_EEPKS4_lPS4_lb.uses_vcc, 1
	.set _ZN9rocsparseL16bsrsm_copy_scaleILj1024E21rocsparse_complex_numIdEEEviiNS_24const_host_device_scalarIT0_EEPKS4_lPS4_lb.uses_flat_scratch, 1
	.set _ZN9rocsparseL16bsrsm_copy_scaleILj1024E21rocsparse_complex_numIdEEEviiNS_24const_host_device_scalarIT0_EEPKS4_lPS4_lb.has_dyn_sized_stack, 0
	.set _ZN9rocsparseL16bsrsm_copy_scaleILj1024E21rocsparse_complex_numIdEEEviiNS_24const_host_device_scalarIT0_EEPKS4_lPS4_lb.has_recursion, 0
	.set _ZN9rocsparseL16bsrsm_copy_scaleILj1024E21rocsparse_complex_numIdEEEviiNS_24const_host_device_scalarIT0_EEPKS4_lPS4_lb.has_indirect_call, 0
	.section	.AMDGPU.csdata,"",@progbits
; Kernel info:
; codeLenInByte = 408
; TotalNumSgprs: 26
; NumVgprs: 17
; ScratchSize: 16
; MemoryBound: 0
; FloatMode: 240
; IeeeMode: 1
; LDSByteSize: 0 bytes/workgroup (compile time only)
; SGPRBlocks: 3
; VGPRBlocks: 4
; NumSGPRsForWavesPerEU: 26
; NumVGPRsForWavesPerEU: 17
; Occupancy: 10
; WaveLimiterHint : 0
; COMPUTE_PGM_RSRC2:SCRATCH_EN: 1
; COMPUTE_PGM_RSRC2:USER_SGPR: 8
; COMPUTE_PGM_RSRC2:TRAP_HANDLER: 0
; COMPUTE_PGM_RSRC2:TGID_X_EN: 1
; COMPUTE_PGM_RSRC2:TGID_Y_EN: 0
; COMPUTE_PGM_RSRC2:TGID_Z_EN: 0
; COMPUTE_PGM_RSRC2:TIDIG_COMP_CNT: 0
	.section	.text._ZN9rocsparseL10bsr_gatherILj4ELj64ELj2Ei21rocsparse_complex_numIdEEEv20rocsparse_direction_T2_PKS4_PKT3_PS7_S4_,"axG",@progbits,_ZN9rocsparseL10bsr_gatherILj4ELj64ELj2Ei21rocsparse_complex_numIdEEEv20rocsparse_direction_T2_PKS4_PKT3_PS7_S4_,comdat
	.globl	_ZN9rocsparseL10bsr_gatherILj4ELj64ELj2Ei21rocsparse_complex_numIdEEEv20rocsparse_direction_T2_PKS4_PKT3_PS7_S4_ ; -- Begin function _ZN9rocsparseL10bsr_gatherILj4ELj64ELj2Ei21rocsparse_complex_numIdEEEv20rocsparse_direction_T2_PKS4_PKT3_PS7_S4_
	.p2align	8
	.type	_ZN9rocsparseL10bsr_gatherILj4ELj64ELj2Ei21rocsparse_complex_numIdEEEv20rocsparse_direction_T2_PKS4_PKT3_PS7_S4_,@function
_ZN9rocsparseL10bsr_gatherILj4ELj64ELj2Ei21rocsparse_complex_numIdEEEv20rocsparse_direction_T2_PKS4_PKT3_PS7_S4_: ; @_ZN9rocsparseL10bsr_gatherILj4ELj64ELj2Ei21rocsparse_complex_numIdEEEv20rocsparse_direction_T2_PKS4_PKT3_PS7_S4_
; %bb.0:
	s_load_dwordx2 s[8:9], s[4:5], 0x0
	v_lshl_add_u32 v2, s6, 6, v1
	s_waitcnt lgkmcnt(0)
	v_cmp_gt_i32_e32 vcc, s9, v2
	s_and_saveexec_b64 s[0:1], vcc
	s_cbranch_execz .LBB49_15
; %bb.1:
	s_load_dword s16, s[4:5], 0x20
	v_and_b32_e32 v1, 1, v0
	s_waitcnt lgkmcnt(0)
	v_cmp_gt_i32_e32 vcc, s16, v1
	s_and_b64 exec, exec, vcc
	s_cbranch_execz .LBB49_15
; %bb.2:
	s_load_dwordx4 s[0:3], s[4:5], 0x8
	s_load_dwordx2 s[6:7], s[4:5], 0x18
	v_ashrrev_i32_e32 v3, 31, v2
	v_lshlrev_b64 v[3:4], 2, v[2:3]
	v_mul_lo_u32 v6, s16, v2
	s_waitcnt lgkmcnt(0)
	v_mov_b32_e32 v5, s1
	v_add_co_u32_e32 v3, vcc, s0, v3
	v_addc_co_u32_e32 v4, vcc, v5, v4, vcc
	global_load_dword v3, v[3:4], off
	v_add_u32_e32 v2, v6, v1
	v_mul_lo_u32 v8, s16, v2
	v_lshrrev_b32_e32 v0, 1, v0
	s_cmp_lg_u32 s8, 0
	v_cmp_gt_u32_e64 s[0:1], s16, v0
	s_cselect_b64 s[4:5], -1, 0
	s_lshl_b32 s17, s16, 1
	s_mov_b64 s[8:9], 0
	s_waitcnt vmcnt(0)
	v_mul_lo_u32 v7, v3, s16
	v_add_u32_e32 v2, v7, v1
	v_mul_lo_u32 v9, s16, v2
	s_branch .LBB49_4
.LBB49_3:                               ;   in Loop: Header=BB49_4 Depth=1
	s_or_b64 exec, exec, s[10:11]
	v_add_u32_e32 v1, 2, v1
	v_cmp_le_i32_e32 vcc, s16, v1
	v_add_u32_e32 v8, s17, v8
	s_or_b64 s[8:9], vcc, s[8:9]
	v_add_u32_e32 v9, s17, v9
	s_andn2_b64 exec, exec, s[8:9]
	s_cbranch_execz .LBB49_15
.LBB49_4:                               ; =>This Loop Header: Depth=1
                                        ;     Child Loop BB49_7 Depth 2
	s_and_saveexec_b64 s[10:11], s[0:1]
	s_cbranch_execz .LBB49_3
; %bb.5:                                ;   in Loop: Header=BB49_4 Depth=1
	s_mov_b64 s[12:13], 0
	v_mov_b32_e32 v10, v0
	s_branch .LBB49_7
.LBB49_6:                               ;   in Loop: Header=BB49_7 Depth=2
	v_ashrrev_i32_e32 v3, 31, v2
	v_lshlrev_b64 v[2:3], 4, v[2:3]
	v_mov_b32_e32 v5, s3
	v_add_co_u32_e32 v2, vcc, s2, v2
	v_addc_co_u32_e32 v3, vcc, v5, v3, vcc
	global_load_dwordx4 v[11:14], v[2:3], off
	v_ashrrev_i32_e32 v5, 31, v4
	v_lshlrev_b64 v[2:3], 4, v[4:5]
	v_mov_b32_e32 v4, s7
	v_add_co_u32_e32 v2, vcc, s6, v2
	v_addc_co_u32_e32 v3, vcc, v4, v3, vcc
	v_add_u32_e32 v10, 2, v10
	v_cmp_le_i32_e32 vcc, s16, v10
	s_or_b64 s[12:13], vcc, s[12:13]
	s_waitcnt vmcnt(0)
	global_store_dwordx4 v[2:3], v[11:14], off
	s_andn2_b64 exec, exec, s[12:13]
	s_cbranch_execz .LBB49_3
.LBB49_7:                               ;   Parent Loop BB49_4 Depth=1
                                        ; =>  This Inner Loop Header: Depth=2
	s_and_b64 vcc, exec, s[4:5]
	s_cbranch_vccz .LBB49_12
; %bb.8:                                ;   in Loop: Header=BB49_7 Depth=2
	v_add_u32_e32 v2, v9, v10
	s_cbranch_execnz .LBB49_10
.LBB49_9:                               ;   in Loop: Header=BB49_7 Depth=2
	v_add_u32_e32 v2, v10, v7
	v_mad_u64_u32 v[2:3], s[14:15], v2, s16, v[1:2]
.LBB49_10:                              ;   in Loop: Header=BB49_7 Depth=2
	s_and_b64 vcc, exec, s[4:5]
	s_cbranch_vccz .LBB49_13
; %bb.11:                               ;   in Loop: Header=BB49_7 Depth=2
	v_add_u32_e32 v3, v10, v6
	v_mad_u64_u32 v[4:5], s[14:15], v3, s16, v[1:2]
	s_cbranch_execnz .LBB49_6
	s_branch .LBB49_14
.LBB49_12:                              ;   in Loop: Header=BB49_7 Depth=2
                                        ; implicit-def: $vgpr2
	s_branch .LBB49_9
.LBB49_13:                              ;   in Loop: Header=BB49_7 Depth=2
                                        ; implicit-def: $vgpr4
.LBB49_14:                              ;   in Loop: Header=BB49_7 Depth=2
	v_add_u32_e32 v4, v8, v10
	s_branch .LBB49_6
.LBB49_15:
	s_endpgm
	.section	.rodata,"a",@progbits
	.p2align	6, 0x0
	.amdhsa_kernel _ZN9rocsparseL10bsr_gatherILj4ELj64ELj2Ei21rocsparse_complex_numIdEEEv20rocsparse_direction_T2_PKS4_PKT3_PS7_S4_
		.amdhsa_group_segment_fixed_size 0
		.amdhsa_private_segment_fixed_size 0
		.amdhsa_kernarg_size 36
		.amdhsa_user_sgpr_count 6
		.amdhsa_user_sgpr_private_segment_buffer 1
		.amdhsa_user_sgpr_dispatch_ptr 0
		.amdhsa_user_sgpr_queue_ptr 0
		.amdhsa_user_sgpr_kernarg_segment_ptr 1
		.amdhsa_user_sgpr_dispatch_id 0
		.amdhsa_user_sgpr_flat_scratch_init 0
		.amdhsa_user_sgpr_private_segment_size 0
		.amdhsa_uses_dynamic_stack 0
		.amdhsa_system_sgpr_private_segment_wavefront_offset 0
		.amdhsa_system_sgpr_workgroup_id_x 1
		.amdhsa_system_sgpr_workgroup_id_y 0
		.amdhsa_system_sgpr_workgroup_id_z 0
		.amdhsa_system_sgpr_workgroup_info 0
		.amdhsa_system_vgpr_workitem_id 1
		.amdhsa_next_free_vgpr 15
		.amdhsa_next_free_sgpr 18
		.amdhsa_reserve_vcc 1
		.amdhsa_reserve_flat_scratch 0
		.amdhsa_float_round_mode_32 0
		.amdhsa_float_round_mode_16_64 0
		.amdhsa_float_denorm_mode_32 3
		.amdhsa_float_denorm_mode_16_64 3
		.amdhsa_dx10_clamp 1
		.amdhsa_ieee_mode 1
		.amdhsa_fp16_overflow 0
		.amdhsa_exception_fp_ieee_invalid_op 0
		.amdhsa_exception_fp_denorm_src 0
		.amdhsa_exception_fp_ieee_div_zero 0
		.amdhsa_exception_fp_ieee_overflow 0
		.amdhsa_exception_fp_ieee_underflow 0
		.amdhsa_exception_fp_ieee_inexact 0
		.amdhsa_exception_int_div_zero 0
	.end_amdhsa_kernel
	.section	.text._ZN9rocsparseL10bsr_gatherILj4ELj64ELj2Ei21rocsparse_complex_numIdEEEv20rocsparse_direction_T2_PKS4_PKT3_PS7_S4_,"axG",@progbits,_ZN9rocsparseL10bsr_gatherILj4ELj64ELj2Ei21rocsparse_complex_numIdEEEv20rocsparse_direction_T2_PKS4_PKT3_PS7_S4_,comdat
.Lfunc_end49:
	.size	_ZN9rocsparseL10bsr_gatherILj4ELj64ELj2Ei21rocsparse_complex_numIdEEEv20rocsparse_direction_T2_PKS4_PKT3_PS7_S4_, .Lfunc_end49-_ZN9rocsparseL10bsr_gatherILj4ELj64ELj2Ei21rocsparse_complex_numIdEEEv20rocsparse_direction_T2_PKS4_PKT3_PS7_S4_
                                        ; -- End function
	.set _ZN9rocsparseL10bsr_gatherILj4ELj64ELj2Ei21rocsparse_complex_numIdEEEv20rocsparse_direction_T2_PKS4_PKT3_PS7_S4_.num_vgpr, 15
	.set _ZN9rocsparseL10bsr_gatherILj4ELj64ELj2Ei21rocsparse_complex_numIdEEEv20rocsparse_direction_T2_PKS4_PKT3_PS7_S4_.num_agpr, 0
	.set _ZN9rocsparseL10bsr_gatherILj4ELj64ELj2Ei21rocsparse_complex_numIdEEEv20rocsparse_direction_T2_PKS4_PKT3_PS7_S4_.numbered_sgpr, 18
	.set _ZN9rocsparseL10bsr_gatherILj4ELj64ELj2Ei21rocsparse_complex_numIdEEEv20rocsparse_direction_T2_PKS4_PKT3_PS7_S4_.num_named_barrier, 0
	.set _ZN9rocsparseL10bsr_gatherILj4ELj64ELj2Ei21rocsparse_complex_numIdEEEv20rocsparse_direction_T2_PKS4_PKT3_PS7_S4_.private_seg_size, 0
	.set _ZN9rocsparseL10bsr_gatherILj4ELj64ELj2Ei21rocsparse_complex_numIdEEEv20rocsparse_direction_T2_PKS4_PKT3_PS7_S4_.uses_vcc, 1
	.set _ZN9rocsparseL10bsr_gatherILj4ELj64ELj2Ei21rocsparse_complex_numIdEEEv20rocsparse_direction_T2_PKS4_PKT3_PS7_S4_.uses_flat_scratch, 0
	.set _ZN9rocsparseL10bsr_gatherILj4ELj64ELj2Ei21rocsparse_complex_numIdEEEv20rocsparse_direction_T2_PKS4_PKT3_PS7_S4_.has_dyn_sized_stack, 0
	.set _ZN9rocsparseL10bsr_gatherILj4ELj64ELj2Ei21rocsparse_complex_numIdEEEv20rocsparse_direction_T2_PKS4_PKT3_PS7_S4_.has_recursion, 0
	.set _ZN9rocsparseL10bsr_gatherILj4ELj64ELj2Ei21rocsparse_complex_numIdEEEv20rocsparse_direction_T2_PKS4_PKT3_PS7_S4_.has_indirect_call, 0
	.section	.AMDGPU.csdata,"",@progbits
; Kernel info:
; codeLenInByte = 400
; TotalNumSgprs: 22
; NumVgprs: 15
; ScratchSize: 0
; MemoryBound: 0
; FloatMode: 240
; IeeeMode: 1
; LDSByteSize: 0 bytes/workgroup (compile time only)
; SGPRBlocks: 2
; VGPRBlocks: 3
; NumSGPRsForWavesPerEU: 22
; NumVGPRsForWavesPerEU: 15
; Occupancy: 10
; WaveLimiterHint : 0
; COMPUTE_PGM_RSRC2:SCRATCH_EN: 0
; COMPUTE_PGM_RSRC2:USER_SGPR: 6
; COMPUTE_PGM_RSRC2:TRAP_HANDLER: 0
; COMPUTE_PGM_RSRC2:TGID_X_EN: 1
; COMPUTE_PGM_RSRC2:TGID_Y_EN: 0
; COMPUTE_PGM_RSRC2:TGID_Z_EN: 0
; COMPUTE_PGM_RSRC2:TIDIG_COMP_CNT: 1
	.section	.text._ZN9rocsparseL10bsr_gatherILj16ELj16ELj4Ei21rocsparse_complex_numIdEEEv20rocsparse_direction_T2_PKS4_PKT3_PS7_S4_,"axG",@progbits,_ZN9rocsparseL10bsr_gatherILj16ELj16ELj4Ei21rocsparse_complex_numIdEEEv20rocsparse_direction_T2_PKS4_PKT3_PS7_S4_,comdat
	.globl	_ZN9rocsparseL10bsr_gatherILj16ELj16ELj4Ei21rocsparse_complex_numIdEEEv20rocsparse_direction_T2_PKS4_PKT3_PS7_S4_ ; -- Begin function _ZN9rocsparseL10bsr_gatherILj16ELj16ELj4Ei21rocsparse_complex_numIdEEEv20rocsparse_direction_T2_PKS4_PKT3_PS7_S4_
	.p2align	8
	.type	_ZN9rocsparseL10bsr_gatherILj16ELj16ELj4Ei21rocsparse_complex_numIdEEEv20rocsparse_direction_T2_PKS4_PKT3_PS7_S4_,@function
_ZN9rocsparseL10bsr_gatherILj16ELj16ELj4Ei21rocsparse_complex_numIdEEEv20rocsparse_direction_T2_PKS4_PKT3_PS7_S4_: ; @_ZN9rocsparseL10bsr_gatherILj16ELj16ELj4Ei21rocsparse_complex_numIdEEEv20rocsparse_direction_T2_PKS4_PKT3_PS7_S4_
; %bb.0:
	s_load_dwordx2 s[8:9], s[4:5], 0x0
	v_lshl_add_u32 v2, s6, 4, v1
	s_waitcnt lgkmcnt(0)
	v_cmp_gt_i32_e32 vcc, s9, v2
	s_and_saveexec_b64 s[0:1], vcc
	s_cbranch_execz .LBB50_15
; %bb.1:
	s_load_dword s16, s[4:5], 0x20
	v_and_b32_e32 v1, 3, v0
	s_waitcnt lgkmcnt(0)
	v_cmp_gt_i32_e32 vcc, s16, v1
	s_and_b64 exec, exec, vcc
	s_cbranch_execz .LBB50_15
; %bb.2:
	s_load_dwordx4 s[0:3], s[4:5], 0x8
	s_load_dwordx2 s[6:7], s[4:5], 0x18
	v_ashrrev_i32_e32 v3, 31, v2
	v_lshlrev_b64 v[3:4], 2, v[2:3]
	v_mul_lo_u32 v6, s16, v2
	s_waitcnt lgkmcnt(0)
	v_mov_b32_e32 v5, s1
	v_add_co_u32_e32 v3, vcc, s0, v3
	v_addc_co_u32_e32 v4, vcc, v5, v4, vcc
	global_load_dword v3, v[3:4], off
	v_add_u32_e32 v2, v6, v1
	v_mul_lo_u32 v8, s16, v2
	v_lshrrev_b32_e32 v0, 2, v0
	s_cmp_lg_u32 s8, 0
	v_cmp_gt_u32_e64 s[0:1], s16, v0
	s_cselect_b64 s[4:5], -1, 0
	s_lshl_b32 s17, s16, 2
	s_mov_b64 s[8:9], 0
	s_waitcnt vmcnt(0)
	v_mul_lo_u32 v7, v3, s16
	v_add_u32_e32 v2, v7, v1
	v_mul_lo_u32 v9, s16, v2
	s_branch .LBB50_4
.LBB50_3:                               ;   in Loop: Header=BB50_4 Depth=1
	s_or_b64 exec, exec, s[10:11]
	v_add_u32_e32 v1, 4, v1
	v_cmp_le_i32_e32 vcc, s16, v1
	v_add_u32_e32 v8, s17, v8
	s_or_b64 s[8:9], vcc, s[8:9]
	v_add_u32_e32 v9, s17, v9
	s_andn2_b64 exec, exec, s[8:9]
	s_cbranch_execz .LBB50_15
.LBB50_4:                               ; =>This Loop Header: Depth=1
                                        ;     Child Loop BB50_7 Depth 2
	s_and_saveexec_b64 s[10:11], s[0:1]
	s_cbranch_execz .LBB50_3
; %bb.5:                                ;   in Loop: Header=BB50_4 Depth=1
	s_mov_b64 s[12:13], 0
	v_mov_b32_e32 v10, v0
	s_branch .LBB50_7
.LBB50_6:                               ;   in Loop: Header=BB50_7 Depth=2
	v_ashrrev_i32_e32 v3, 31, v2
	v_lshlrev_b64 v[2:3], 4, v[2:3]
	v_mov_b32_e32 v5, s3
	v_add_co_u32_e32 v2, vcc, s2, v2
	v_addc_co_u32_e32 v3, vcc, v5, v3, vcc
	global_load_dwordx4 v[11:14], v[2:3], off
	v_ashrrev_i32_e32 v5, 31, v4
	v_lshlrev_b64 v[2:3], 4, v[4:5]
	v_mov_b32_e32 v4, s7
	v_add_co_u32_e32 v2, vcc, s6, v2
	v_addc_co_u32_e32 v3, vcc, v4, v3, vcc
	v_add_u32_e32 v10, 4, v10
	v_cmp_le_i32_e32 vcc, s16, v10
	s_or_b64 s[12:13], vcc, s[12:13]
	s_waitcnt vmcnt(0)
	global_store_dwordx4 v[2:3], v[11:14], off
	s_andn2_b64 exec, exec, s[12:13]
	s_cbranch_execz .LBB50_3
.LBB50_7:                               ;   Parent Loop BB50_4 Depth=1
                                        ; =>  This Inner Loop Header: Depth=2
	s_and_b64 vcc, exec, s[4:5]
	s_cbranch_vccz .LBB50_12
; %bb.8:                                ;   in Loop: Header=BB50_7 Depth=2
	v_add_u32_e32 v2, v9, v10
	s_cbranch_execnz .LBB50_10
.LBB50_9:                               ;   in Loop: Header=BB50_7 Depth=2
	v_add_u32_e32 v2, v10, v7
	v_mad_u64_u32 v[2:3], s[14:15], v2, s16, v[1:2]
.LBB50_10:                              ;   in Loop: Header=BB50_7 Depth=2
	s_and_b64 vcc, exec, s[4:5]
	s_cbranch_vccz .LBB50_13
; %bb.11:                               ;   in Loop: Header=BB50_7 Depth=2
	v_add_u32_e32 v3, v10, v6
	v_mad_u64_u32 v[4:5], s[14:15], v3, s16, v[1:2]
	s_cbranch_execnz .LBB50_6
	s_branch .LBB50_14
.LBB50_12:                              ;   in Loop: Header=BB50_7 Depth=2
                                        ; implicit-def: $vgpr2
	s_branch .LBB50_9
.LBB50_13:                              ;   in Loop: Header=BB50_7 Depth=2
                                        ; implicit-def: $vgpr4
.LBB50_14:                              ;   in Loop: Header=BB50_7 Depth=2
	v_add_u32_e32 v4, v8, v10
	s_branch .LBB50_6
.LBB50_15:
	s_endpgm
	.section	.rodata,"a",@progbits
	.p2align	6, 0x0
	.amdhsa_kernel _ZN9rocsparseL10bsr_gatherILj16ELj16ELj4Ei21rocsparse_complex_numIdEEEv20rocsparse_direction_T2_PKS4_PKT3_PS7_S4_
		.amdhsa_group_segment_fixed_size 0
		.amdhsa_private_segment_fixed_size 0
		.amdhsa_kernarg_size 36
		.amdhsa_user_sgpr_count 6
		.amdhsa_user_sgpr_private_segment_buffer 1
		.amdhsa_user_sgpr_dispatch_ptr 0
		.amdhsa_user_sgpr_queue_ptr 0
		.amdhsa_user_sgpr_kernarg_segment_ptr 1
		.amdhsa_user_sgpr_dispatch_id 0
		.amdhsa_user_sgpr_flat_scratch_init 0
		.amdhsa_user_sgpr_private_segment_size 0
		.amdhsa_uses_dynamic_stack 0
		.amdhsa_system_sgpr_private_segment_wavefront_offset 0
		.amdhsa_system_sgpr_workgroup_id_x 1
		.amdhsa_system_sgpr_workgroup_id_y 0
		.amdhsa_system_sgpr_workgroup_id_z 0
		.amdhsa_system_sgpr_workgroup_info 0
		.amdhsa_system_vgpr_workitem_id 1
		.amdhsa_next_free_vgpr 15
		.amdhsa_next_free_sgpr 18
		.amdhsa_reserve_vcc 1
		.amdhsa_reserve_flat_scratch 0
		.amdhsa_float_round_mode_32 0
		.amdhsa_float_round_mode_16_64 0
		.amdhsa_float_denorm_mode_32 3
		.amdhsa_float_denorm_mode_16_64 3
		.amdhsa_dx10_clamp 1
		.amdhsa_ieee_mode 1
		.amdhsa_fp16_overflow 0
		.amdhsa_exception_fp_ieee_invalid_op 0
		.amdhsa_exception_fp_denorm_src 0
		.amdhsa_exception_fp_ieee_div_zero 0
		.amdhsa_exception_fp_ieee_overflow 0
		.amdhsa_exception_fp_ieee_underflow 0
		.amdhsa_exception_fp_ieee_inexact 0
		.amdhsa_exception_int_div_zero 0
	.end_amdhsa_kernel
	.section	.text._ZN9rocsparseL10bsr_gatherILj16ELj16ELj4Ei21rocsparse_complex_numIdEEEv20rocsparse_direction_T2_PKS4_PKT3_PS7_S4_,"axG",@progbits,_ZN9rocsparseL10bsr_gatherILj16ELj16ELj4Ei21rocsparse_complex_numIdEEEv20rocsparse_direction_T2_PKS4_PKT3_PS7_S4_,comdat
.Lfunc_end50:
	.size	_ZN9rocsparseL10bsr_gatherILj16ELj16ELj4Ei21rocsparse_complex_numIdEEEv20rocsparse_direction_T2_PKS4_PKT3_PS7_S4_, .Lfunc_end50-_ZN9rocsparseL10bsr_gatherILj16ELj16ELj4Ei21rocsparse_complex_numIdEEEv20rocsparse_direction_T2_PKS4_PKT3_PS7_S4_
                                        ; -- End function
	.set _ZN9rocsparseL10bsr_gatherILj16ELj16ELj4Ei21rocsparse_complex_numIdEEEv20rocsparse_direction_T2_PKS4_PKT3_PS7_S4_.num_vgpr, 15
	.set _ZN9rocsparseL10bsr_gatherILj16ELj16ELj4Ei21rocsparse_complex_numIdEEEv20rocsparse_direction_T2_PKS4_PKT3_PS7_S4_.num_agpr, 0
	.set _ZN9rocsparseL10bsr_gatherILj16ELj16ELj4Ei21rocsparse_complex_numIdEEEv20rocsparse_direction_T2_PKS4_PKT3_PS7_S4_.numbered_sgpr, 18
	.set _ZN9rocsparseL10bsr_gatherILj16ELj16ELj4Ei21rocsparse_complex_numIdEEEv20rocsparse_direction_T2_PKS4_PKT3_PS7_S4_.num_named_barrier, 0
	.set _ZN9rocsparseL10bsr_gatherILj16ELj16ELj4Ei21rocsparse_complex_numIdEEEv20rocsparse_direction_T2_PKS4_PKT3_PS7_S4_.private_seg_size, 0
	.set _ZN9rocsparseL10bsr_gatherILj16ELj16ELj4Ei21rocsparse_complex_numIdEEEv20rocsparse_direction_T2_PKS4_PKT3_PS7_S4_.uses_vcc, 1
	.set _ZN9rocsparseL10bsr_gatherILj16ELj16ELj4Ei21rocsparse_complex_numIdEEEv20rocsparse_direction_T2_PKS4_PKT3_PS7_S4_.uses_flat_scratch, 0
	.set _ZN9rocsparseL10bsr_gatherILj16ELj16ELj4Ei21rocsparse_complex_numIdEEEv20rocsparse_direction_T2_PKS4_PKT3_PS7_S4_.has_dyn_sized_stack, 0
	.set _ZN9rocsparseL10bsr_gatherILj16ELj16ELj4Ei21rocsparse_complex_numIdEEEv20rocsparse_direction_T2_PKS4_PKT3_PS7_S4_.has_recursion, 0
	.set _ZN9rocsparseL10bsr_gatherILj16ELj16ELj4Ei21rocsparse_complex_numIdEEEv20rocsparse_direction_T2_PKS4_PKT3_PS7_S4_.has_indirect_call, 0
	.section	.AMDGPU.csdata,"",@progbits
; Kernel info:
; codeLenInByte = 400
; TotalNumSgprs: 22
; NumVgprs: 15
; ScratchSize: 0
; MemoryBound: 0
; FloatMode: 240
; IeeeMode: 1
; LDSByteSize: 0 bytes/workgroup (compile time only)
; SGPRBlocks: 2
; VGPRBlocks: 3
; NumSGPRsForWavesPerEU: 22
; NumVGPRsForWavesPerEU: 15
; Occupancy: 10
; WaveLimiterHint : 0
; COMPUTE_PGM_RSRC2:SCRATCH_EN: 0
; COMPUTE_PGM_RSRC2:USER_SGPR: 6
; COMPUTE_PGM_RSRC2:TRAP_HANDLER: 0
; COMPUTE_PGM_RSRC2:TGID_X_EN: 1
; COMPUTE_PGM_RSRC2:TGID_Y_EN: 0
; COMPUTE_PGM_RSRC2:TGID_Z_EN: 0
; COMPUTE_PGM_RSRC2:TIDIG_COMP_CNT: 1
	.section	.text._ZN9rocsparseL10bsr_gatherILj64ELj4ELj8Ei21rocsparse_complex_numIdEEEv20rocsparse_direction_T2_PKS4_PKT3_PS7_S4_,"axG",@progbits,_ZN9rocsparseL10bsr_gatherILj64ELj4ELj8Ei21rocsparse_complex_numIdEEEv20rocsparse_direction_T2_PKS4_PKT3_PS7_S4_,comdat
	.globl	_ZN9rocsparseL10bsr_gatherILj64ELj4ELj8Ei21rocsparse_complex_numIdEEEv20rocsparse_direction_T2_PKS4_PKT3_PS7_S4_ ; -- Begin function _ZN9rocsparseL10bsr_gatherILj64ELj4ELj8Ei21rocsparse_complex_numIdEEEv20rocsparse_direction_T2_PKS4_PKT3_PS7_S4_
	.p2align	8
	.type	_ZN9rocsparseL10bsr_gatherILj64ELj4ELj8Ei21rocsparse_complex_numIdEEEv20rocsparse_direction_T2_PKS4_PKT3_PS7_S4_,@function
_ZN9rocsparseL10bsr_gatherILj64ELj4ELj8Ei21rocsparse_complex_numIdEEEv20rocsparse_direction_T2_PKS4_PKT3_PS7_S4_: ; @_ZN9rocsparseL10bsr_gatherILj64ELj4ELj8Ei21rocsparse_complex_numIdEEEv20rocsparse_direction_T2_PKS4_PKT3_PS7_S4_
; %bb.0:
	s_load_dwordx2 s[8:9], s[4:5], 0x0
	v_lshl_add_u32 v2, s6, 2, v1
	s_waitcnt lgkmcnt(0)
	v_cmp_gt_i32_e32 vcc, s9, v2
	s_and_saveexec_b64 s[0:1], vcc
	s_cbranch_execz .LBB51_15
; %bb.1:
	s_load_dword s16, s[4:5], 0x20
	v_and_b32_e32 v1, 7, v0
	s_waitcnt lgkmcnt(0)
	v_cmp_gt_i32_e32 vcc, s16, v1
	s_and_b64 exec, exec, vcc
	s_cbranch_execz .LBB51_15
; %bb.2:
	s_load_dwordx4 s[0:3], s[4:5], 0x8
	s_load_dwordx2 s[6:7], s[4:5], 0x18
	v_ashrrev_i32_e32 v3, 31, v2
	v_lshlrev_b64 v[3:4], 2, v[2:3]
	v_mul_lo_u32 v6, s16, v2
	s_waitcnt lgkmcnt(0)
	v_mov_b32_e32 v5, s1
	v_add_co_u32_e32 v3, vcc, s0, v3
	v_addc_co_u32_e32 v4, vcc, v5, v4, vcc
	global_load_dword v3, v[3:4], off
	v_add_u32_e32 v2, v6, v1
	v_mul_lo_u32 v8, s16, v2
	v_lshrrev_b32_e32 v0, 3, v0
	s_cmp_lg_u32 s8, 0
	v_cmp_gt_u32_e64 s[0:1], s16, v0
	s_cselect_b64 s[4:5], -1, 0
	s_lshl_b32 s17, s16, 3
	s_mov_b64 s[8:9], 0
	s_waitcnt vmcnt(0)
	v_mul_lo_u32 v7, v3, s16
	v_add_u32_e32 v2, v7, v1
	v_mul_lo_u32 v9, s16, v2
	s_branch .LBB51_4
.LBB51_3:                               ;   in Loop: Header=BB51_4 Depth=1
	s_or_b64 exec, exec, s[10:11]
	v_add_u32_e32 v1, 8, v1
	v_cmp_le_i32_e32 vcc, s16, v1
	v_add_u32_e32 v8, s17, v8
	s_or_b64 s[8:9], vcc, s[8:9]
	v_add_u32_e32 v9, s17, v9
	s_andn2_b64 exec, exec, s[8:9]
	s_cbranch_execz .LBB51_15
.LBB51_4:                               ; =>This Loop Header: Depth=1
                                        ;     Child Loop BB51_7 Depth 2
	s_and_saveexec_b64 s[10:11], s[0:1]
	s_cbranch_execz .LBB51_3
; %bb.5:                                ;   in Loop: Header=BB51_4 Depth=1
	s_mov_b64 s[12:13], 0
	v_mov_b32_e32 v10, v0
	s_branch .LBB51_7
.LBB51_6:                               ;   in Loop: Header=BB51_7 Depth=2
	v_ashrrev_i32_e32 v3, 31, v2
	v_lshlrev_b64 v[2:3], 4, v[2:3]
	v_mov_b32_e32 v5, s3
	v_add_co_u32_e32 v2, vcc, s2, v2
	v_addc_co_u32_e32 v3, vcc, v5, v3, vcc
	global_load_dwordx4 v[11:14], v[2:3], off
	v_ashrrev_i32_e32 v5, 31, v4
	v_lshlrev_b64 v[2:3], 4, v[4:5]
	v_mov_b32_e32 v4, s7
	v_add_co_u32_e32 v2, vcc, s6, v2
	v_addc_co_u32_e32 v3, vcc, v4, v3, vcc
	v_add_u32_e32 v10, 8, v10
	v_cmp_le_i32_e32 vcc, s16, v10
	s_or_b64 s[12:13], vcc, s[12:13]
	s_waitcnt vmcnt(0)
	global_store_dwordx4 v[2:3], v[11:14], off
	s_andn2_b64 exec, exec, s[12:13]
	s_cbranch_execz .LBB51_3
.LBB51_7:                               ;   Parent Loop BB51_4 Depth=1
                                        ; =>  This Inner Loop Header: Depth=2
	s_and_b64 vcc, exec, s[4:5]
	s_cbranch_vccz .LBB51_12
; %bb.8:                                ;   in Loop: Header=BB51_7 Depth=2
	v_add_u32_e32 v2, v9, v10
	s_cbranch_execnz .LBB51_10
.LBB51_9:                               ;   in Loop: Header=BB51_7 Depth=2
	v_add_u32_e32 v2, v10, v7
	v_mad_u64_u32 v[2:3], s[14:15], v2, s16, v[1:2]
.LBB51_10:                              ;   in Loop: Header=BB51_7 Depth=2
	s_and_b64 vcc, exec, s[4:5]
	s_cbranch_vccz .LBB51_13
; %bb.11:                               ;   in Loop: Header=BB51_7 Depth=2
	v_add_u32_e32 v3, v10, v6
	v_mad_u64_u32 v[4:5], s[14:15], v3, s16, v[1:2]
	s_cbranch_execnz .LBB51_6
	s_branch .LBB51_14
.LBB51_12:                              ;   in Loop: Header=BB51_7 Depth=2
                                        ; implicit-def: $vgpr2
	s_branch .LBB51_9
.LBB51_13:                              ;   in Loop: Header=BB51_7 Depth=2
                                        ; implicit-def: $vgpr4
.LBB51_14:                              ;   in Loop: Header=BB51_7 Depth=2
	v_add_u32_e32 v4, v8, v10
	s_branch .LBB51_6
.LBB51_15:
	s_endpgm
	.section	.rodata,"a",@progbits
	.p2align	6, 0x0
	.amdhsa_kernel _ZN9rocsparseL10bsr_gatherILj64ELj4ELj8Ei21rocsparse_complex_numIdEEEv20rocsparse_direction_T2_PKS4_PKT3_PS7_S4_
		.amdhsa_group_segment_fixed_size 0
		.amdhsa_private_segment_fixed_size 0
		.amdhsa_kernarg_size 36
		.amdhsa_user_sgpr_count 6
		.amdhsa_user_sgpr_private_segment_buffer 1
		.amdhsa_user_sgpr_dispatch_ptr 0
		.amdhsa_user_sgpr_queue_ptr 0
		.amdhsa_user_sgpr_kernarg_segment_ptr 1
		.amdhsa_user_sgpr_dispatch_id 0
		.amdhsa_user_sgpr_flat_scratch_init 0
		.amdhsa_user_sgpr_private_segment_size 0
		.amdhsa_uses_dynamic_stack 0
		.amdhsa_system_sgpr_private_segment_wavefront_offset 0
		.amdhsa_system_sgpr_workgroup_id_x 1
		.amdhsa_system_sgpr_workgroup_id_y 0
		.amdhsa_system_sgpr_workgroup_id_z 0
		.amdhsa_system_sgpr_workgroup_info 0
		.amdhsa_system_vgpr_workitem_id 1
		.amdhsa_next_free_vgpr 15
		.amdhsa_next_free_sgpr 18
		.amdhsa_reserve_vcc 1
		.amdhsa_reserve_flat_scratch 0
		.amdhsa_float_round_mode_32 0
		.amdhsa_float_round_mode_16_64 0
		.amdhsa_float_denorm_mode_32 3
		.amdhsa_float_denorm_mode_16_64 3
		.amdhsa_dx10_clamp 1
		.amdhsa_ieee_mode 1
		.amdhsa_fp16_overflow 0
		.amdhsa_exception_fp_ieee_invalid_op 0
		.amdhsa_exception_fp_denorm_src 0
		.amdhsa_exception_fp_ieee_div_zero 0
		.amdhsa_exception_fp_ieee_overflow 0
		.amdhsa_exception_fp_ieee_underflow 0
		.amdhsa_exception_fp_ieee_inexact 0
		.amdhsa_exception_int_div_zero 0
	.end_amdhsa_kernel
	.section	.text._ZN9rocsparseL10bsr_gatherILj64ELj4ELj8Ei21rocsparse_complex_numIdEEEv20rocsparse_direction_T2_PKS4_PKT3_PS7_S4_,"axG",@progbits,_ZN9rocsparseL10bsr_gatherILj64ELj4ELj8Ei21rocsparse_complex_numIdEEEv20rocsparse_direction_T2_PKS4_PKT3_PS7_S4_,comdat
.Lfunc_end51:
	.size	_ZN9rocsparseL10bsr_gatherILj64ELj4ELj8Ei21rocsparse_complex_numIdEEEv20rocsparse_direction_T2_PKS4_PKT3_PS7_S4_, .Lfunc_end51-_ZN9rocsparseL10bsr_gatherILj64ELj4ELj8Ei21rocsparse_complex_numIdEEEv20rocsparse_direction_T2_PKS4_PKT3_PS7_S4_
                                        ; -- End function
	.set _ZN9rocsparseL10bsr_gatherILj64ELj4ELj8Ei21rocsparse_complex_numIdEEEv20rocsparse_direction_T2_PKS4_PKT3_PS7_S4_.num_vgpr, 15
	.set _ZN9rocsparseL10bsr_gatherILj64ELj4ELj8Ei21rocsparse_complex_numIdEEEv20rocsparse_direction_T2_PKS4_PKT3_PS7_S4_.num_agpr, 0
	.set _ZN9rocsparseL10bsr_gatherILj64ELj4ELj8Ei21rocsparse_complex_numIdEEEv20rocsparse_direction_T2_PKS4_PKT3_PS7_S4_.numbered_sgpr, 18
	.set _ZN9rocsparseL10bsr_gatherILj64ELj4ELj8Ei21rocsparse_complex_numIdEEEv20rocsparse_direction_T2_PKS4_PKT3_PS7_S4_.num_named_barrier, 0
	.set _ZN9rocsparseL10bsr_gatherILj64ELj4ELj8Ei21rocsparse_complex_numIdEEEv20rocsparse_direction_T2_PKS4_PKT3_PS7_S4_.private_seg_size, 0
	.set _ZN9rocsparseL10bsr_gatherILj64ELj4ELj8Ei21rocsparse_complex_numIdEEEv20rocsparse_direction_T2_PKS4_PKT3_PS7_S4_.uses_vcc, 1
	.set _ZN9rocsparseL10bsr_gatherILj64ELj4ELj8Ei21rocsparse_complex_numIdEEEv20rocsparse_direction_T2_PKS4_PKT3_PS7_S4_.uses_flat_scratch, 0
	.set _ZN9rocsparseL10bsr_gatherILj64ELj4ELj8Ei21rocsparse_complex_numIdEEEv20rocsparse_direction_T2_PKS4_PKT3_PS7_S4_.has_dyn_sized_stack, 0
	.set _ZN9rocsparseL10bsr_gatherILj64ELj4ELj8Ei21rocsparse_complex_numIdEEEv20rocsparse_direction_T2_PKS4_PKT3_PS7_S4_.has_recursion, 0
	.set _ZN9rocsparseL10bsr_gatherILj64ELj4ELj8Ei21rocsparse_complex_numIdEEEv20rocsparse_direction_T2_PKS4_PKT3_PS7_S4_.has_indirect_call, 0
	.section	.AMDGPU.csdata,"",@progbits
; Kernel info:
; codeLenInByte = 400
; TotalNumSgprs: 22
; NumVgprs: 15
; ScratchSize: 0
; MemoryBound: 0
; FloatMode: 240
; IeeeMode: 1
; LDSByteSize: 0 bytes/workgroup (compile time only)
; SGPRBlocks: 2
; VGPRBlocks: 3
; NumSGPRsForWavesPerEU: 22
; NumVGPRsForWavesPerEU: 15
; Occupancy: 10
; WaveLimiterHint : 0
; COMPUTE_PGM_RSRC2:SCRATCH_EN: 0
; COMPUTE_PGM_RSRC2:USER_SGPR: 6
; COMPUTE_PGM_RSRC2:TRAP_HANDLER: 0
; COMPUTE_PGM_RSRC2:TGID_X_EN: 1
; COMPUTE_PGM_RSRC2:TGID_Y_EN: 0
; COMPUTE_PGM_RSRC2:TGID_Z_EN: 0
; COMPUTE_PGM_RSRC2:TIDIG_COMP_CNT: 1
	.section	.text._ZN9rocsparseL24bsrsm_upper_large_kernelILj256ELj16ELb1E21rocsparse_complex_numIdEEEviiPKiS4_PKT2_iPS5_iPiS4_S9_21rocsparse_index_base_20rocsparse_diag_type_20rocsparse_direction_,"axG",@progbits,_ZN9rocsparseL24bsrsm_upper_large_kernelILj256ELj16ELb1E21rocsparse_complex_numIdEEEviiPKiS4_PKT2_iPS5_iPiS4_S9_21rocsparse_index_base_20rocsparse_diag_type_20rocsparse_direction_,comdat
	.globl	_ZN9rocsparseL24bsrsm_upper_large_kernelILj256ELj16ELb1E21rocsparse_complex_numIdEEEviiPKiS4_PKT2_iPS5_iPiS4_S9_21rocsparse_index_base_20rocsparse_diag_type_20rocsparse_direction_ ; -- Begin function _ZN9rocsparseL24bsrsm_upper_large_kernelILj256ELj16ELb1E21rocsparse_complex_numIdEEEviiPKiS4_PKT2_iPS5_iPiS4_S9_21rocsparse_index_base_20rocsparse_diag_type_20rocsparse_direction_
	.p2align	8
	.type	_ZN9rocsparseL24bsrsm_upper_large_kernelILj256ELj16ELb1E21rocsparse_complex_numIdEEEviiPKiS4_PKT2_iPS5_iPiS4_S9_21rocsparse_index_base_20rocsparse_diag_type_20rocsparse_direction_,@function
_ZN9rocsparseL24bsrsm_upper_large_kernelILj256ELj16ELb1E21rocsparse_complex_numIdEEEviiPKiS4_PKT2_iPS5_iPiS4_S9_21rocsparse_index_base_20rocsparse_diag_type_20rocsparse_direction_: ; @_ZN9rocsparseL24bsrsm_upper_large_kernelILj256ELj16ELb1E21rocsparse_complex_numIdEEEviiPKiS4_PKT2_iPS5_iPiS4_S9_21rocsparse_index_base_20rocsparse_diag_type_20rocsparse_direction_
; %bb.0:
	s_load_dwordx2 s[24:25], s[4:5], 0x0
	s_load_dwordx4 s[16:19], s[4:5], 0x8
	s_load_dwordx4 s[8:11], s[4:5], 0x38
	s_load_dwordx2 s[20:21], s[4:5], 0x48
	v_lshrrev_b32_e32 v8, 4, v0
	v_and_b32_e32 v12, 15, v0
	s_waitcnt lgkmcnt(0)
	v_cvt_f32_u32_e32 v1, s24
	s_sub_i32 s0, 0, s24
	v_rcp_iflag_f32_e32 v1, v1
	v_mul_f32_e32 v1, 0x4f7ffffe, v1
	v_cvt_u32_f32_e32 v1, v1
	v_readfirstlane_b32 s1, v1
	s_mul_i32 s0, s0, s1
	s_mul_hi_u32 s0, s1, s0
	s_add_i32 s1, s1, s0
	s_mul_hi_u32 s0, s6, s1
	s_mul_i32 s1, s0, s24
	s_sub_i32 s1, s6, s1
	s_add_i32 s2, s0, 1
	s_sub_i32 s3, s1, s24
	s_cmp_ge_u32 s1, s24
	s_cselect_b32 s0, s2, s0
	s_cselect_b32 s1, s3, s1
	s_add_i32 s2, s0, 1
	s_cmp_ge_u32 s1, s24
	s_cselect_b32 s26, s2, s0
	s_mul_i32 s33, s26, s24
	s_sub_i32 s0, s6, s33
	s_ashr_i32 s1, s0, 31
	s_lshl_b64 s[0:1], s[0:1], 2
	s_add_u32 s0, s10, s0
	s_addc_u32 s1, s11, s1
	s_load_dword s6, s[0:1], 0x0
	s_load_dwordx2 s[10:11], s[4:5], 0x18
	s_load_dword s34, s[4:5], 0x20
	s_load_dwordx2 s[22:23], s[4:5], 0x28
	s_load_dword s35, s[4:5], 0x30
	s_load_dwordx4 s[12:15], s[4:5], 0x50
	s_waitcnt lgkmcnt(0)
	s_ashr_i32 s7, s6, 31
	s_lshl_b64 s[0:1], s[6:7], 2
	s_add_u32 s0, s16, s0
	s_addc_u32 s1, s17, s1
	s_load_dwordx2 s[2:3], s[0:1], 0x0
	s_lshl_b32 s36, s26, 4
	s_not_b32 s0, s12
	v_or_b32_e32 v9, s36, v8
	v_cmp_gt_i32_e32 vcc, s25, v9
	s_waitcnt lgkmcnt(0)
	s_sub_i32 s15, s2, s12
	s_add_i32 s4, s3, s0
	s_cmp_lt_i32 s4, s15
	s_mul_i32 s7, s6, s34
	v_cmp_eq_u32_e64 s[0:1], 0, v0
	s_cbranch_scc1 .LBB52_20
; %bb.1:
	s_mul_i32 s5, s34, s4
	v_add_u32_e32 v1, s5, v12
	v_mul_lo_u32 v10, s34, v1
	v_cmp_gt_i32_e64 s[2:3], s34, v12
	s_cmp_lg_u32 s14, 0
	s_cselect_b64 s[16:17], -1, 0
	s_and_b64 s[2:3], vcc, s[2:3]
	s_mul_i32 s37, s35, s34
	s_mul_i32 s38, s34, s34
	s_lshl_b32 s39, s34, 4
	v_mov_b32_e32 v11, 0
	s_branch .LBB52_3
.LBB52_2:                               ;   in Loop: Header=BB52_3 Depth=1
                                        ; implicit-def: $vgpr10
	s_and_b64 vcc, exec, s[26:27]
	s_cbranch_vccnz .LBB52_21
.LBB52_3:                               ; =>This Loop Header: Depth=1
                                        ;     Child Loop BB52_18 Depth 2
                                        ;       Child Loop BB52_19 Depth 3
                                        ;     Child Loop BB52_9 Depth 2
                                        ;       Child Loop BB52_11 Depth 3
	s_ashr_i32 s5, s4, 31
	s_lshl_b64 s[26:27], s[4:5], 2
	s_add_u32 s26, s18, s26
	s_addc_u32 s27, s19, s27
	global_load_dword v1, v11, s[26:27]
	s_mov_b64 s[26:27], -1
	s_waitcnt vmcnt(0)
	v_readfirstlane_b32 s5, v1
	s_sub_i32 s5, s5, s12
	s_cmp_le_i32 s5, s6
	s_cbranch_scc1 .LBB52_2
; %bb.4:                                ;   in Loop: Header=BB52_3 Depth=1
	s_and_saveexec_b64 s[26:27], s[0:1]
	s_cbranch_execz .LBB52_6
; %bb.5:                                ;   in Loop: Header=BB52_3 Depth=1
	s_add_i32 s28, s5, s33
	s_ashr_i32 s29, s28, 31
	s_lshl_b64 s[28:29], s[28:29], 2
	s_add_u32 s28, s8, s28
	s_addc_u32 s29, s9, s29
	global_load_dword v1, v11, s[28:29] glc
	s_waitcnt vmcnt(0)
	v_cmp_ne_u32_e32 vcc, 0, v1
	s_cbranch_vccz .LBB52_16
.LBB52_6:                               ;   in Loop: Header=BB52_3 Depth=1
	s_or_b64 exec, exec, s[26:27]
	buffer_wbinvl1_vol
	s_barrier
	s_and_saveexec_b64 s[26:27], s[2:3]
	s_cbranch_execz .LBB52_15
; %bb.7:                                ;   in Loop: Header=BB52_3 Depth=1
	s_mul_i32 s28, s37, s5
	s_mul_i32 s40, s4, s34
	v_add_u32_e32 v13, s28, v9
	s_mov_b64 s[28:29], 0
	v_mov_b32_e32 v14, v10
	v_mov_b32_e32 v15, v12
	s_branch .LBB52_9
.LBB52_8:                               ;   in Loop: Header=BB52_9 Depth=2
	v_add_u32_e32 v5, s7, v15
	v_mad_u64_u32 v[5:6], s[30:31], v5, s35, v[9:10]
	v_mov_b32_e32 v7, s23
	v_add_u32_e32 v15, 16, v15
	v_ashrrev_i32_e32 v6, 31, v5
	v_lshlrev_b64 v[5:6], 4, v[5:6]
	v_add_u32_e32 v14, s39, v14
	v_add_co_u32_e32 v20, vcc, s22, v5
	v_addc_co_u32_e32 v21, vcc, v7, v6, vcc
	global_load_dwordx4 v[16:19], v[20:21], off
	v_cmp_le_i32_e32 vcc, s34, v15
	s_or_b64 s[28:29], vcc, s[28:29]
	s_waitcnt vmcnt(0)
	v_add_f64 v[3:4], v[16:17], -v[3:4]
	v_add_f64 v[5:6], v[18:19], -v[1:2]
	global_store_dwordx4 v[20:21], v[3:6], off
	s_andn2_b64 exec, exec, s[28:29]
	s_cbranch_execz .LBB52_15
.LBB52_9:                               ;   Parent Loop BB52_3 Depth=1
                                        ; =>  This Loop Header: Depth=2
                                        ;       Child Loop BB52_11 Depth 3
	v_mov_b32_e32 v1, 0
	v_mov_b32_e32 v3, 0
	;; [unrolled: 1-line block ×3, first 2 shown]
	s_mov_b32 s41, 0
	v_mov_b32_e32 v4, 0
	v_mov_b32_e32 v5, v13
	s_branch .LBB52_11
.LBB52_10:                              ;   in Loop: Header=BB52_11 Depth=3
	v_ashrrev_i32_e32 v7, 31, v6
	v_lshlrev_b64 v[6:7], 4, v[6:7]
	v_mov_b32_e32 v16, s11
	v_add_co_u32_e32 v6, vcc, s10, v6
	v_addc_co_u32_e32 v7, vcc, v16, v7, vcc
	global_load_dwordx4 v[16:19], v[6:7], off
	v_ashrrev_i32_e32 v6, 31, v5
	v_lshlrev_b64 v[6:7], 4, v[5:6]
	v_mov_b32_e32 v20, s23
	v_add_co_u32_e32 v6, vcc, s22, v6
	v_addc_co_u32_e32 v7, vcc, v20, v7, vcc
	global_load_dwordx4 v[20:23], v[6:7], off
	s_add_i32 s41, s41, 1
	s_cmp_eq_u32 s34, s41
	v_add_u32_e32 v5, s35, v5
	s_waitcnt vmcnt(0)
	v_fma_f64 v[3:4], v[16:17], v[20:21], v[3:4]
	v_fma_f64 v[1:2], v[18:19], v[20:21], v[1:2]
	v_fma_f64 v[3:4], -v[18:19], v[22:23], v[3:4]
	v_fma_f64 v[1:2], v[16:17], v[22:23], v[1:2]
	s_cbranch_scc1 .LBB52_8
.LBB52_11:                              ;   Parent Loop BB52_3 Depth=1
                                        ;     Parent Loop BB52_9 Depth=2
                                        ; =>    This Inner Loop Header: Depth=3
	s_and_b64 vcc, exec, s[16:17]
	s_cbranch_vccz .LBB52_13
; %bb.12:                               ;   in Loop: Header=BB52_11 Depth=3
	s_add_i32 s30, s41, s40
	s_mul_i32 s30, s30, s34
	v_add_u32_e32 v6, s30, v15
	s_cbranch_execnz .LBB52_10
	s_branch .LBB52_14
.LBB52_13:                              ;   in Loop: Header=BB52_11 Depth=3
                                        ; implicit-def: $vgpr6
.LBB52_14:                              ;   in Loop: Header=BB52_11 Depth=3
	v_add_u32_e32 v6, s41, v14
	s_branch .LBB52_10
.LBB52_15:                              ;   in Loop: Header=BB52_3 Depth=1
	s_or_b64 exec, exec, s[26:27]
	s_add_i32 s28, s4, -1
	s_cmp_le_i32 s4, s15
	v_subrev_u32_e32 v10, s38, v10
	s_cselect_b64 s[26:27], -1, 0
	s_mov_b32 s4, s28
	s_and_b64 vcc, exec, s[26:27]
	s_cbranch_vccz .LBB52_3
	s_branch .LBB52_21
.LBB52_16:                              ;   in Loop: Header=BB52_3 Depth=1
	s_mov_b32 s30, 0
	s_branch .LBB52_18
.LBB52_17:                              ;   in Loop: Header=BB52_18 Depth=2
	global_load_dword v1, v11, s[28:29] glc
	s_cmpk_lt_u32 s30, 0xf43
	s_cselect_b64 s[40:41], -1, 0
	s_cmp_lg_u64 s[40:41], 0
	s_addc_u32 s30, s30, 0
	s_waitcnt vmcnt(0)
	v_cmp_ne_u32_e32 vcc, 0, v1
	s_cbranch_vccnz .LBB52_6
.LBB52_18:                              ;   Parent Loop BB52_3 Depth=1
                                        ; =>  This Loop Header: Depth=2
                                        ;       Child Loop BB52_19 Depth 3
	s_cmp_eq_u32 s30, 0
	s_mov_b32 s31, s30
	s_cbranch_scc1 .LBB52_17
.LBB52_19:                              ;   Parent Loop BB52_3 Depth=1
                                        ;     Parent Loop BB52_18 Depth=2
                                        ; =>    This Inner Loop Header: Depth=3
	s_add_i32 s31, s31, -1
	s_cmp_eq_u32 s31, 0
	s_sleep 1
	s_cbranch_scc0 .LBB52_19
	s_branch .LBB52_17
.LBB52_20:
	s_mov_b32 s5, s24
.LBB52_21:
	s_cmp_lt_i32 s6, s24
	s_cselect_b64 s[16:17], -1, 0
	s_cmp_eq_u32 s6, s5
	s_cselect_b64 s[0:1], -1, 0
	v_cmp_gt_i32_e32 vcc, s25, v9
	s_and_b64 s[0:1], vcc, s[0:1]
	s_cmp_gt_i32 s34, 0
	s_cselect_b64 s[2:3], -1, 0
	s_and_b64 s[0:1], s[0:1], s[2:3]
	s_and_b64 s[2:3], s[0:1], s[16:17]
	s_mov_b64 s[0:1], 0
	s_and_saveexec_b64 s[18:19], s[2:3]
	s_cbranch_execz .LBB52_38
; %bb.22:
	v_add_u32_e32 v1, s7, v12
	s_cmp_eq_u32 s13, 0
	v_mul_lo_u32 v1, s35, v1
	s_cselect_b64 s[0:1], -1, 0
	s_cmp_lg_u32 s14, 0
	s_cselect_b64 s[14:15], -1, 0
	s_add_i32 s2, s4, 1
	s_mul_i32 s2, s34, s2
	v_add3_u32 v13, v8, v1, s36
	s_add_i32 s2, s2, -1
	v_cndmask_b32_e64 v1, 0, 1, s[0:1]
	s_mul_i32 s13, s4, s34
	s_lshl_b32 s28, s35, 4
	s_mul_i32 s29, s34, s2
	s_mov_b64 s[4:5], 0
	v_cmp_ne_u32_e64 s[0:1], 1, v1
	v_mov_b32_e32 v14, 0
	v_mov_b32_e32 v15, s23
	s_mov_b32 s30, s34
	s_and_b64 vcc, exec, s[0:1]
	s_add_i32 s31, s30, -1
	s_cbranch_vccz .LBB52_24
.LBB52_23:
	v_mov_b32_e32 v7, 0
	v_mov_b32_e32 v5, 0
	;; [unrolled: 1-line block ×4, first 2 shown]
	s_branch .LBB52_25
.LBB52_24:
	s_add_i32 s2, s31, s13
	s_mul_i32 s2, s2, s34
	s_add_i32 s2, s2, s31
	s_ashr_i32 s3, s2, 31
	s_lshl_b64 s[2:3], s[2:3], 4
	s_add_u32 s2, s10, s2
	s_addc_u32 s3, s11, s3
	global_load_dwordx4 v[5:8], v14, s[2:3]
.LBB52_25:
	s_add_i32 s2, s31, s7
	s_mul_i32 s2, s2, s35
	s_waitcnt vmcnt(0)
	v_add_u32_e32 v1, s2, v9
	v_ashrrev_i32_e32 v2, 31, v1
	v_lshlrev_b64 v[1:2], 4, v[1:2]
	s_waitcnt vmcnt(0)
	v_cmp_eq_f64_e64 s[2:3], 0, v[7:8]
	v_add_co_u32_e32 v10, vcc, s22, v1
	v_addc_co_u32_e32 v11, vcc, v15, v2, vcc
	global_load_dwordx4 v[1:4], v[10:11], off
	v_cmp_eq_f64_e32 vcc, 0, v[5:6]
	s_and_b64 s[2:3], vcc, s[2:3]
	s_and_b64 vcc, exec, s[2:3]
	s_cbranch_vccnz .LBB52_27
; %bb.26:
	s_waitcnt vmcnt(0)
	v_mul_f64 v[16:17], v[7:8], v[3:4]
	v_fma_f64 v[16:17], v[1:2], v[5:6], v[16:17]
	v_mul_f64 v[1:2], v[7:8], -v[1:2]
	v_fma_f64 v[3:4], v[3:4], v[5:6], v[1:2]
	v_mul_f64 v[1:2], v[7:8], v[7:8]
	v_fma_f64 v[1:2], v[5:6], v[5:6], v[1:2]
	v_div_scale_f64 v[5:6], s[2:3], v[1:2], v[1:2], 1.0
	v_rcp_f64_e32 v[7:8], v[5:6]
	v_fma_f64 v[18:19], -v[5:6], v[7:8], 1.0
	v_fma_f64 v[7:8], v[7:8], v[18:19], v[7:8]
	v_fma_f64 v[18:19], -v[5:6], v[7:8], 1.0
	v_fma_f64 v[7:8], v[7:8], v[18:19], v[7:8]
	v_div_scale_f64 v[18:19], vcc, 1.0, v[1:2], 1.0
	v_mul_f64 v[20:21], v[18:19], v[7:8]
	v_fma_f64 v[5:6], -v[5:6], v[20:21], v[18:19]
	s_nop 1
	v_div_fmas_f64 v[5:6], v[5:6], v[7:8], v[20:21]
	v_div_fixup_f64 v[5:6], v[5:6], v[1:2], 1.0
	v_mul_f64 v[1:2], v[5:6], v[16:17]
	v_mul_f64 v[3:4], v[5:6], v[3:4]
	global_store_dwordx4 v[10:11], v[1:4], off
	v_cmp_gt_i32_e32 vcc, s31, v12
	s_and_saveexec_b64 s[2:3], vcc
	s_cbranch_execnz .LBB52_28
	s_branch .LBB52_34
.LBB52_27:
	s_mov_b64 s[4:5], -1
	v_cmp_gt_i32_e32 vcc, s31, v12
	s_and_saveexec_b64 s[2:3], vcc
	s_cbranch_execz .LBB52_34
.LBB52_28:
	s_mov_b64 s[24:25], 0
	v_mov_b32_e32 v5, v13
	v_mov_b32_e32 v8, v12
	s_branch .LBB52_30
.LBB52_29:                              ;   in Loop: Header=BB52_30 Depth=1
	v_ashrrev_i32_e32 v7, 31, v6
	v_lshlrev_b64 v[6:7], 4, v[6:7]
	v_mov_b32_e32 v10, s11
	v_add_co_u32_e32 v6, vcc, s10, v6
	v_addc_co_u32_e32 v7, vcc, v10, v7, vcc
	global_load_dwordx4 v[16:19], v[6:7], off
	v_add_u32_e32 v8, 16, v8
	s_waitcnt vmcnt(0)
	v_mul_f64 v[6:7], v[18:19], -v[3:4]
	v_fma_f64 v[10:11], v[1:2], v[16:17], v[6:7]
	v_mul_f64 v[6:7], v[1:2], v[18:19]
	v_fma_f64 v[20:21], v[3:4], v[16:17], v[6:7]
	v_ashrrev_i32_e32 v6, 31, v5
	v_lshlrev_b64 v[6:7], 4, v[5:6]
	v_mov_b32_e32 v16, s23
	v_add_co_u32_e32 v6, vcc, s22, v6
	v_addc_co_u32_e32 v7, vcc, v16, v7, vcc
	global_load_dwordx4 v[16:19], v[6:7], off
	v_cmp_le_i32_e32 vcc, s31, v8
	s_or_b64 s[24:25], vcc, s[24:25]
	v_add_u32_e32 v5, s28, v5
	s_waitcnt vmcnt(0)
	v_add_f64 v[16:17], v[16:17], -v[10:11]
	v_add_f64 v[18:19], v[18:19], -v[20:21]
	global_store_dwordx4 v[6:7], v[16:19], off
	s_andn2_b64 exec, exec, s[24:25]
	s_cbranch_execz .LBB52_34
.LBB52_30:                              ; =>This Inner Loop Header: Depth=1
	s_and_b64 vcc, exec, s[14:15]
	s_cbranch_vccz .LBB52_32
; %bb.31:                               ;   in Loop: Header=BB52_30 Depth=1
	v_add_u32_e32 v6, s29, v8
	s_cbranch_execnz .LBB52_29
	s_branch .LBB52_33
.LBB52_32:                              ;   in Loop: Header=BB52_30 Depth=1
                                        ; implicit-def: $vgpr6
.LBB52_33:                              ;   in Loop: Header=BB52_30 Depth=1
	v_add_u32_e32 v6, s13, v8
	v_mul_lo_u32 v6, v6, s34
	v_add_u32_e32 v6, s31, v6
	s_branch .LBB52_29
.LBB52_34:
	s_or_b64 exec, exec, s[2:3]
; %bb.35:
	s_sub_i32 s29, s29, s34
	s_cmp_lt_i32 s30, 2
	s_cbranch_scc1 .LBB52_37
; %bb.36:
	s_mov_b32 s30, s31
	s_and_b64 vcc, exec, s[0:1]
	s_add_i32 s31, s30, -1
	s_cbranch_vccnz .LBB52_23
	s_branch .LBB52_24
.LBB52_37:
	s_and_b64 s[0:1], s[4:5], exec
.LBB52_38:
	s_or_b64 exec, exec, s[18:19]
	v_cmp_eq_u32_e32 vcc, 0, v0
	s_and_b64 s[2:3], vcc, s[16:17]
	s_waitcnt vmcnt(0)
	buffer_wbinvl1_vol
	s_barrier
	s_and_saveexec_b64 s[4:5], s[2:3]
	s_cbranch_execz .LBB52_42
; %bb.39:
	s_add_i32 s2, s6, s33
	s_ashr_i32 s3, s2, 31
	s_lshl_b64 s[2:3], s[2:3], 2
	s_add_u32 s2, s8, s2
	s_addc_u32 s3, s9, s3
	v_mov_b32_e32 v0, 0
	v_mov_b32_e32 v1, 1
	global_store_dword v0, v1, s[2:3]
	s_and_b64 exec, exec, s[0:1]
	s_cbranch_execz .LBB52_42
; %bb.40:
	v_mbcnt_lo_u32_b32 v0, exec_lo, 0
	v_mbcnt_hi_u32_b32 v0, exec_hi, v0
	v_cmp_eq_u32_e32 vcc, 0, v0
	s_and_b64 exec, exec, vcc
	s_cbranch_execz .LBB52_42
; %bb.41:
	s_add_i32 s0, s6, s12
	v_mov_b32_e32 v0, 0
	v_mov_b32_e32 v1, s0
	global_atomic_smin v0, v1, s[20:21]
.LBB52_42:
	s_endpgm
	.section	.rodata,"a",@progbits
	.p2align	6, 0x0
	.amdhsa_kernel _ZN9rocsparseL24bsrsm_upper_large_kernelILj256ELj16ELb1E21rocsparse_complex_numIdEEEviiPKiS4_PKT2_iPS5_iPiS4_S9_21rocsparse_index_base_20rocsparse_diag_type_20rocsparse_direction_
		.amdhsa_group_segment_fixed_size 0
		.amdhsa_private_segment_fixed_size 0
		.amdhsa_kernarg_size 92
		.amdhsa_user_sgpr_count 6
		.amdhsa_user_sgpr_private_segment_buffer 1
		.amdhsa_user_sgpr_dispatch_ptr 0
		.amdhsa_user_sgpr_queue_ptr 0
		.amdhsa_user_sgpr_kernarg_segment_ptr 1
		.amdhsa_user_sgpr_dispatch_id 0
		.amdhsa_user_sgpr_flat_scratch_init 0
		.amdhsa_user_sgpr_private_segment_size 0
		.amdhsa_uses_dynamic_stack 0
		.amdhsa_system_sgpr_private_segment_wavefront_offset 0
		.amdhsa_system_sgpr_workgroup_id_x 1
		.amdhsa_system_sgpr_workgroup_id_y 0
		.amdhsa_system_sgpr_workgroup_id_z 0
		.amdhsa_system_sgpr_workgroup_info 0
		.amdhsa_system_vgpr_workitem_id 0
		.amdhsa_next_free_vgpr 24
		.amdhsa_next_free_sgpr 42
		.amdhsa_reserve_vcc 1
		.amdhsa_reserve_flat_scratch 0
		.amdhsa_float_round_mode_32 0
		.amdhsa_float_round_mode_16_64 0
		.amdhsa_float_denorm_mode_32 3
		.amdhsa_float_denorm_mode_16_64 3
		.amdhsa_dx10_clamp 1
		.amdhsa_ieee_mode 1
		.amdhsa_fp16_overflow 0
		.amdhsa_exception_fp_ieee_invalid_op 0
		.amdhsa_exception_fp_denorm_src 0
		.amdhsa_exception_fp_ieee_div_zero 0
		.amdhsa_exception_fp_ieee_overflow 0
		.amdhsa_exception_fp_ieee_underflow 0
		.amdhsa_exception_fp_ieee_inexact 0
		.amdhsa_exception_int_div_zero 0
	.end_amdhsa_kernel
	.section	.text._ZN9rocsparseL24bsrsm_upper_large_kernelILj256ELj16ELb1E21rocsparse_complex_numIdEEEviiPKiS4_PKT2_iPS5_iPiS4_S9_21rocsparse_index_base_20rocsparse_diag_type_20rocsparse_direction_,"axG",@progbits,_ZN9rocsparseL24bsrsm_upper_large_kernelILj256ELj16ELb1E21rocsparse_complex_numIdEEEviiPKiS4_PKT2_iPS5_iPiS4_S9_21rocsparse_index_base_20rocsparse_diag_type_20rocsparse_direction_,comdat
.Lfunc_end52:
	.size	_ZN9rocsparseL24bsrsm_upper_large_kernelILj256ELj16ELb1E21rocsparse_complex_numIdEEEviiPKiS4_PKT2_iPS5_iPiS4_S9_21rocsparse_index_base_20rocsparse_diag_type_20rocsparse_direction_, .Lfunc_end52-_ZN9rocsparseL24bsrsm_upper_large_kernelILj256ELj16ELb1E21rocsparse_complex_numIdEEEviiPKiS4_PKT2_iPS5_iPiS4_S9_21rocsparse_index_base_20rocsparse_diag_type_20rocsparse_direction_
                                        ; -- End function
	.set _ZN9rocsparseL24bsrsm_upper_large_kernelILj256ELj16ELb1E21rocsparse_complex_numIdEEEviiPKiS4_PKT2_iPS5_iPiS4_S9_21rocsparse_index_base_20rocsparse_diag_type_20rocsparse_direction_.num_vgpr, 24
	.set _ZN9rocsparseL24bsrsm_upper_large_kernelILj256ELj16ELb1E21rocsparse_complex_numIdEEEviiPKiS4_PKT2_iPS5_iPiS4_S9_21rocsparse_index_base_20rocsparse_diag_type_20rocsparse_direction_.num_agpr, 0
	.set _ZN9rocsparseL24bsrsm_upper_large_kernelILj256ELj16ELb1E21rocsparse_complex_numIdEEEviiPKiS4_PKT2_iPS5_iPiS4_S9_21rocsparse_index_base_20rocsparse_diag_type_20rocsparse_direction_.numbered_sgpr, 42
	.set _ZN9rocsparseL24bsrsm_upper_large_kernelILj256ELj16ELb1E21rocsparse_complex_numIdEEEviiPKiS4_PKT2_iPS5_iPiS4_S9_21rocsparse_index_base_20rocsparse_diag_type_20rocsparse_direction_.num_named_barrier, 0
	.set _ZN9rocsparseL24bsrsm_upper_large_kernelILj256ELj16ELb1E21rocsparse_complex_numIdEEEviiPKiS4_PKT2_iPS5_iPiS4_S9_21rocsparse_index_base_20rocsparse_diag_type_20rocsparse_direction_.private_seg_size, 0
	.set _ZN9rocsparseL24bsrsm_upper_large_kernelILj256ELj16ELb1E21rocsparse_complex_numIdEEEviiPKiS4_PKT2_iPS5_iPiS4_S9_21rocsparse_index_base_20rocsparse_diag_type_20rocsparse_direction_.uses_vcc, 1
	.set _ZN9rocsparseL24bsrsm_upper_large_kernelILj256ELj16ELb1E21rocsparse_complex_numIdEEEviiPKiS4_PKT2_iPS5_iPiS4_S9_21rocsparse_index_base_20rocsparse_diag_type_20rocsparse_direction_.uses_flat_scratch, 0
	.set _ZN9rocsparseL24bsrsm_upper_large_kernelILj256ELj16ELb1E21rocsparse_complex_numIdEEEviiPKiS4_PKT2_iPS5_iPiS4_S9_21rocsparse_index_base_20rocsparse_diag_type_20rocsparse_direction_.has_dyn_sized_stack, 0
	.set _ZN9rocsparseL24bsrsm_upper_large_kernelILj256ELj16ELb1E21rocsparse_complex_numIdEEEviiPKiS4_PKT2_iPS5_iPiS4_S9_21rocsparse_index_base_20rocsparse_diag_type_20rocsparse_direction_.has_recursion, 0
	.set _ZN9rocsparseL24bsrsm_upper_large_kernelILj256ELj16ELb1E21rocsparse_complex_numIdEEEviiPKiS4_PKT2_iPS5_iPiS4_S9_21rocsparse_index_base_20rocsparse_diag_type_20rocsparse_direction_.has_indirect_call, 0
	.section	.AMDGPU.csdata,"",@progbits
; Kernel info:
; codeLenInByte = 1744
; TotalNumSgprs: 46
; NumVgprs: 24
; ScratchSize: 0
; MemoryBound: 0
; FloatMode: 240
; IeeeMode: 1
; LDSByteSize: 0 bytes/workgroup (compile time only)
; SGPRBlocks: 5
; VGPRBlocks: 5
; NumSGPRsForWavesPerEU: 46
; NumVGPRsForWavesPerEU: 24
; Occupancy: 10
; WaveLimiterHint : 1
; COMPUTE_PGM_RSRC2:SCRATCH_EN: 0
; COMPUTE_PGM_RSRC2:USER_SGPR: 6
; COMPUTE_PGM_RSRC2:TRAP_HANDLER: 0
; COMPUTE_PGM_RSRC2:TGID_X_EN: 1
; COMPUTE_PGM_RSRC2:TGID_Y_EN: 0
; COMPUTE_PGM_RSRC2:TGID_Z_EN: 0
; COMPUTE_PGM_RSRC2:TIDIG_COMP_CNT: 0
	.section	.text._ZN9rocsparseL24bsrsm_lower_large_kernelILj256ELj16ELb1E21rocsparse_complex_numIdEEEviiPKiS4_PKT2_iPS5_iPiS4_S9_21rocsparse_index_base_20rocsparse_diag_type_20rocsparse_direction_,"axG",@progbits,_ZN9rocsparseL24bsrsm_lower_large_kernelILj256ELj16ELb1E21rocsparse_complex_numIdEEEviiPKiS4_PKT2_iPS5_iPiS4_S9_21rocsparse_index_base_20rocsparse_diag_type_20rocsparse_direction_,comdat
	.globl	_ZN9rocsparseL24bsrsm_lower_large_kernelILj256ELj16ELb1E21rocsparse_complex_numIdEEEviiPKiS4_PKT2_iPS5_iPiS4_S9_21rocsparse_index_base_20rocsparse_diag_type_20rocsparse_direction_ ; -- Begin function _ZN9rocsparseL24bsrsm_lower_large_kernelILj256ELj16ELb1E21rocsparse_complex_numIdEEEviiPKiS4_PKT2_iPS5_iPiS4_S9_21rocsparse_index_base_20rocsparse_diag_type_20rocsparse_direction_
	.p2align	8
	.type	_ZN9rocsparseL24bsrsm_lower_large_kernelILj256ELj16ELb1E21rocsparse_complex_numIdEEEviiPKiS4_PKT2_iPS5_iPiS4_S9_21rocsparse_index_base_20rocsparse_diag_type_20rocsparse_direction_,@function
_ZN9rocsparseL24bsrsm_lower_large_kernelILj256ELj16ELb1E21rocsparse_complex_numIdEEEviiPKiS4_PKT2_iPS5_iPiS4_S9_21rocsparse_index_base_20rocsparse_diag_type_20rocsparse_direction_: ; @_ZN9rocsparseL24bsrsm_lower_large_kernelILj256ELj16ELb1E21rocsparse_complex_numIdEEEviiPKiS4_PKT2_iPS5_iPiS4_S9_21rocsparse_index_base_20rocsparse_diag_type_20rocsparse_direction_
; %bb.0:
	s_load_dwordx2 s[24:25], s[4:5], 0x0
	s_load_dwordx4 s[16:19], s[4:5], 0x8
	s_load_dwordx4 s[8:11], s[4:5], 0x38
	s_load_dwordx2 s[20:21], s[4:5], 0x48
	v_lshrrev_b32_e32 v10, 4, v0
	v_and_b32_e32 v8, 15, v0
	s_waitcnt lgkmcnt(0)
	v_cvt_f32_u32_e32 v1, s24
	s_sub_i32 s0, 0, s24
	v_rcp_iflag_f32_e32 v1, v1
	v_mul_f32_e32 v1, 0x4f7ffffe, v1
	v_cvt_u32_f32_e32 v1, v1
	v_readfirstlane_b32 s1, v1
	s_mul_i32 s0, s0, s1
	s_mul_hi_u32 s0, s1, s0
	s_add_i32 s1, s1, s0
	s_mul_hi_u32 s0, s6, s1
	s_mul_i32 s1, s0, s24
	s_sub_i32 s1, s6, s1
	s_add_i32 s2, s0, 1
	s_sub_i32 s3, s1, s24
	s_cmp_ge_u32 s1, s24
	s_cselect_b32 s0, s2, s0
	s_cselect_b32 s1, s3, s1
	s_add_i32 s2, s0, 1
	s_cmp_ge_u32 s1, s24
	s_cselect_b32 s26, s2, s0
	s_mul_i32 s33, s26, s24
	s_sub_i32 s0, s6, s33
	s_ashr_i32 s1, s0, 31
	s_lshl_b64 s[0:1], s[0:1], 2
	s_add_u32 s0, s10, s0
	s_addc_u32 s1, s11, s1
	s_load_dword s6, s[0:1], 0x0
	s_load_dwordx2 s[10:11], s[4:5], 0x18
	s_load_dword s34, s[4:5], 0x20
	s_load_dwordx2 s[22:23], s[4:5], 0x28
	s_load_dword s35, s[4:5], 0x30
	s_load_dwordx4 s[12:15], s[4:5], 0x50
	s_waitcnt lgkmcnt(0)
	s_ashr_i32 s7, s6, 31
	s_lshl_b64 s[0:1], s[6:7], 2
	s_add_u32 s0, s16, s0
	s_addc_u32 s1, s17, s1
	s_load_dwordx2 s[2:3], s[0:1], 0x0
	s_lshl_b32 s36, s26, 4
	v_or_b32_e32 v9, s36, v10
	s_mul_i32 s7, s6, s34
	v_cmp_gt_i32_e32 vcc, s25, v9
	s_waitcnt lgkmcnt(0)
	s_sub_i32 s16, s2, s12
	s_cmp_ge_i32 s2, s3
	s_mul_i32 s37, s34, s34
	v_cmp_eq_u32_e64 s[0:1], 0, v0
	s_cbranch_scc1 .LBB53_20
; %bb.1:
	s_mul_i32 s17, s34, s16
	v_add_u32_e32 v1, s17, v8
	v_mul_lo_u32 v11, s34, v1
	s_sub_i32 s15, s3, s12
	v_cmp_gt_i32_e64 s[2:3], s34, v8
	s_cmp_lg_u32 s14, 0
	s_cselect_b64 s[4:5], -1, 0
	s_and_b64 s[2:3], vcc, s[2:3]
	s_mul_i32 s38, s35, s34
	s_lshl_b32 s39, s34, 4
	v_mov_b32_e32 v12, 0
	s_branch .LBB53_3
.LBB53_2:                               ;   in Loop: Header=BB53_3 Depth=1
                                        ; implicit-def: $vgpr11
	s_and_b64 vcc, exec, s[26:27]
	s_cbranch_vccnz .LBB53_21
.LBB53_3:                               ; =>This Loop Header: Depth=1
                                        ;     Child Loop BB53_18 Depth 2
                                        ;       Child Loop BB53_19 Depth 3
                                        ;     Child Loop BB53_9 Depth 2
                                        ;       Child Loop BB53_11 Depth 3
	s_ashr_i32 s17, s16, 31
	s_lshl_b64 s[26:27], s[16:17], 2
	s_add_u32 s26, s18, s26
	s_addc_u32 s27, s19, s27
	global_load_dword v1, v12, s[26:27]
	s_mov_b64 s[26:27], -1
	s_waitcnt vmcnt(0)
	v_readfirstlane_b32 s17, v1
	s_sub_i32 s17, s17, s12
	s_cmp_ge_i32 s17, s6
	s_cbranch_scc1 .LBB53_2
; %bb.4:                                ;   in Loop: Header=BB53_3 Depth=1
	s_and_saveexec_b64 s[26:27], s[0:1]
	s_cbranch_execz .LBB53_6
; %bb.5:                                ;   in Loop: Header=BB53_3 Depth=1
	s_add_i32 s28, s17, s33
	s_ashr_i32 s29, s28, 31
	s_lshl_b64 s[28:29], s[28:29], 2
	s_add_u32 s28, s8, s28
	s_addc_u32 s29, s9, s29
	global_load_dword v1, v12, s[28:29] glc
	s_waitcnt vmcnt(0)
	v_cmp_ne_u32_e32 vcc, 0, v1
	s_cbranch_vccz .LBB53_16
.LBB53_6:                               ;   in Loop: Header=BB53_3 Depth=1
	s_or_b64 exec, exec, s[26:27]
	buffer_wbinvl1_vol
	s_barrier
	s_and_saveexec_b64 s[26:27], s[2:3]
	s_cbranch_execz .LBB53_15
; %bb.7:                                ;   in Loop: Header=BB53_3 Depth=1
	s_mul_i32 s28, s38, s17
	s_mul_i32 s40, s16, s34
	v_add_u32_e32 v13, s28, v9
	s_mov_b64 s[28:29], 0
	v_mov_b32_e32 v14, v11
	v_mov_b32_e32 v15, v8
	s_branch .LBB53_9
.LBB53_8:                               ;   in Loop: Header=BB53_9 Depth=2
	v_add_u32_e32 v5, s7, v15
	v_mad_u64_u32 v[5:6], s[30:31], v5, s35, v[9:10]
	v_mov_b32_e32 v7, s23
	v_add_u32_e32 v15, 16, v15
	v_ashrrev_i32_e32 v6, 31, v5
	v_lshlrev_b64 v[5:6], 4, v[5:6]
	v_add_u32_e32 v14, s39, v14
	v_add_co_u32_e32 v20, vcc, s22, v5
	v_addc_co_u32_e32 v21, vcc, v7, v6, vcc
	global_load_dwordx4 v[16:19], v[20:21], off
	v_cmp_le_i32_e32 vcc, s34, v15
	s_or_b64 s[28:29], vcc, s[28:29]
	s_waitcnt vmcnt(0)
	v_add_f64 v[3:4], v[16:17], -v[3:4]
	v_add_f64 v[5:6], v[18:19], -v[1:2]
	global_store_dwordx4 v[20:21], v[3:6], off
	s_andn2_b64 exec, exec, s[28:29]
	s_cbranch_execz .LBB53_15
.LBB53_9:                               ;   Parent Loop BB53_3 Depth=1
                                        ; =>  This Loop Header: Depth=2
                                        ;       Child Loop BB53_11 Depth 3
	v_mov_b32_e32 v1, 0
	v_mov_b32_e32 v3, 0
	;; [unrolled: 1-line block ×3, first 2 shown]
	s_mov_b32 s41, 0
	v_mov_b32_e32 v4, 0
	v_mov_b32_e32 v5, v13
	s_branch .LBB53_11
.LBB53_10:                              ;   in Loop: Header=BB53_11 Depth=3
	v_ashrrev_i32_e32 v7, 31, v6
	v_lshlrev_b64 v[6:7], 4, v[6:7]
	v_mov_b32_e32 v16, s11
	v_add_co_u32_e32 v6, vcc, s10, v6
	v_addc_co_u32_e32 v7, vcc, v16, v7, vcc
	global_load_dwordx4 v[16:19], v[6:7], off
	v_ashrrev_i32_e32 v6, 31, v5
	v_lshlrev_b64 v[6:7], 4, v[5:6]
	v_mov_b32_e32 v20, s23
	v_add_co_u32_e32 v6, vcc, s22, v6
	v_addc_co_u32_e32 v7, vcc, v20, v7, vcc
	global_load_dwordx4 v[20:23], v[6:7], off
	s_add_i32 s41, s41, 1
	s_cmp_eq_u32 s34, s41
	v_add_u32_e32 v5, s35, v5
	s_waitcnt vmcnt(0)
	v_fma_f64 v[3:4], v[16:17], v[20:21], v[3:4]
	v_fma_f64 v[1:2], v[18:19], v[20:21], v[1:2]
	v_fma_f64 v[3:4], -v[18:19], v[22:23], v[3:4]
	v_fma_f64 v[1:2], v[16:17], v[22:23], v[1:2]
	s_cbranch_scc1 .LBB53_8
.LBB53_11:                              ;   Parent Loop BB53_3 Depth=1
                                        ;     Parent Loop BB53_9 Depth=2
                                        ; =>    This Inner Loop Header: Depth=3
	s_and_b64 vcc, exec, s[4:5]
	s_cbranch_vccz .LBB53_13
; %bb.12:                               ;   in Loop: Header=BB53_11 Depth=3
	s_add_i32 s30, s41, s40
	s_mul_i32 s30, s30, s34
	v_add_u32_e32 v6, s30, v15
	s_cbranch_execnz .LBB53_10
	s_branch .LBB53_14
.LBB53_13:                              ;   in Loop: Header=BB53_11 Depth=3
                                        ; implicit-def: $vgpr6
.LBB53_14:                              ;   in Loop: Header=BB53_11 Depth=3
	v_add_u32_e32 v6, s41, v14
	s_branch .LBB53_10
.LBB53_15:                              ;   in Loop: Header=BB53_3 Depth=1
	s_or_b64 exec, exec, s[26:27]
	s_add_i32 s16, s16, 1
	s_cmp_ge_i32 s16, s15
	v_add_u32_e32 v11, s37, v11
	s_cselect_b64 s[26:27], -1, 0
	s_and_b64 vcc, exec, s[26:27]
	s_cbranch_vccz .LBB53_3
	s_branch .LBB53_21
.LBB53_16:                              ;   in Loop: Header=BB53_3 Depth=1
	s_mov_b32 s30, 0
	s_branch .LBB53_18
.LBB53_17:                              ;   in Loop: Header=BB53_18 Depth=2
	global_load_dword v1, v12, s[28:29] glc
	s_cmpk_lt_u32 s30, 0xf43
	s_cselect_b64 s[40:41], -1, 0
	s_cmp_lg_u64 s[40:41], 0
	s_addc_u32 s30, s30, 0
	s_waitcnt vmcnt(0)
	v_cmp_ne_u32_e32 vcc, 0, v1
	s_cbranch_vccnz .LBB53_6
.LBB53_18:                              ;   Parent Loop BB53_3 Depth=1
                                        ; =>  This Loop Header: Depth=2
                                        ;       Child Loop BB53_19 Depth 3
	s_cmp_eq_u32 s30, 0
	s_mov_b32 s31, s30
	s_cbranch_scc1 .LBB53_17
.LBB53_19:                              ;   Parent Loop BB53_3 Depth=1
                                        ;     Parent Loop BB53_18 Depth=2
                                        ; =>    This Inner Loop Header: Depth=3
	s_add_i32 s31, s31, -1
	s_cmp_eq_u32 s31, 0
	s_sleep 1
	s_cbranch_scc0 .LBB53_19
	s_branch .LBB53_17
.LBB53_20:
	s_mov_b32 s17, s24
.LBB53_21:
	s_cmp_lt_i32 s6, s24
	s_cselect_b64 s[4:5], -1, 0
	s_cmp_eq_u32 s6, s17
	s_cselect_b64 s[0:1], -1, 0
	v_cmp_gt_i32_e32 vcc, s25, v9
	s_and_b64 s[0:1], vcc, s[0:1]
	s_cmp_gt_i32 s34, 0
	s_cselect_b64 s[2:3], -1, 0
	s_and_b64 s[0:1], s[0:1], s[2:3]
	s_mov_b32 s28, 0
	s_and_b64 s[2:3], s[0:1], s[4:5]
	s_mov_b64 s[0:1], 0
	s_and_saveexec_b64 s[18:19], s[2:3]
	s_cbranch_execz .LBB53_37
; %bb.22:
	v_add_u32_e32 v1, s7, v8
	v_mul_lo_u32 v1, s35, v1
	s_cmp_eq_u32 s13, 0
	s_cselect_b64 s[0:1], -1, 0
	s_cmp_lg_u32 s14, 0
	v_add_u32_e32 v1, s35, v1
	v_add3_u32 v13, v10, v1, s36
	v_cndmask_b32_e64 v1, 0, 1, s[0:1]
	s_cselect_b64 s[14:15], -1, 0
	v_add_u32_e32 v12, 1, v8
	s_mul_i32 s13, s16, s34
	s_lshl_b32 s29, s35, 4
	s_mul_i32 s30, s16, s37
	s_add_i32 s31, s34, 1
	s_mov_b64 s[16:17], 0
	v_cmp_ne_u32_e64 s[0:1], 1, v1
	v_mov_b32_e32 v14, 0
	v_mov_b32_e32 v15, s23
	s_branch .LBB53_24
.LBB53_23:                              ;   in Loop: Header=BB53_24 Depth=1
	s_or_b64 exec, exec, s[2:3]
	s_add_i32 s28, s28, 1
	s_add_i32 s30, s30, s31
	s_cmp_eq_u32 s28, s34
	v_add_u32_e32 v13, s35, v13
	s_cbranch_scc1 .LBB53_36
.LBB53_24:                              ; =>This Loop Header: Depth=1
                                        ;     Child Loop BB53_32 Depth 2
	s_and_b64 vcc, exec, s[0:1]
	s_cbranch_vccz .LBB53_26
; %bb.25:                               ;   in Loop: Header=BB53_24 Depth=1
	v_mov_b32_e32 v7, 0
	v_mov_b32_e32 v5, 0
	;; [unrolled: 1-line block ×4, first 2 shown]
	s_branch .LBB53_27
.LBB53_26:                              ;   in Loop: Header=BB53_24 Depth=1
	s_add_i32 s2, s28, s13
	s_mul_i32 s2, s2, s34
	s_add_i32 s2, s2, s28
	s_ashr_i32 s3, s2, 31
	s_lshl_b64 s[2:3], s[2:3], 4
	s_add_u32 s2, s10, s2
	s_addc_u32 s3, s11, s3
	global_load_dwordx4 v[5:8], v14, s[2:3]
.LBB53_27:                              ;   in Loop: Header=BB53_24 Depth=1
	s_add_i32 s2, s28, s7
	s_mul_i32 s2, s2, s35
	s_waitcnt vmcnt(0)
	v_add_u32_e32 v1, s2, v9
	v_ashrrev_i32_e32 v2, 31, v1
	v_lshlrev_b64 v[1:2], 4, v[1:2]
	s_waitcnt vmcnt(0)
	v_cmp_eq_f64_e64 s[2:3], 0, v[7:8]
	v_add_co_u32_e32 v10, vcc, s22, v1
	v_addc_co_u32_e32 v11, vcc, v15, v2, vcc
	global_load_dwordx4 v[1:4], v[10:11], off
	v_cmp_eq_f64_e32 vcc, 0, v[5:6]
	s_and_b64 s[2:3], vcc, s[2:3]
	s_and_b64 vcc, exec, s[2:3]
	s_cbranch_vccnz .LBB53_29
; %bb.28:                               ;   in Loop: Header=BB53_24 Depth=1
	v_mul_f64 v[16:17], v[7:8], v[7:8]
	v_fma_f64 v[16:17], v[5:6], v[5:6], v[16:17]
	v_div_scale_f64 v[18:19], s[2:3], v[16:17], v[16:17], 1.0
	v_rcp_f64_e32 v[20:21], v[18:19]
	v_fma_f64 v[22:23], -v[18:19], v[20:21], 1.0
	v_fma_f64 v[20:21], v[20:21], v[22:23], v[20:21]
	v_div_scale_f64 v[22:23], vcc, 1.0, v[16:17], 1.0
	v_fma_f64 v[24:25], -v[18:19], v[20:21], 1.0
	v_fma_f64 v[20:21], v[20:21], v[24:25], v[20:21]
	v_mul_f64 v[24:25], v[22:23], v[20:21]
	v_fma_f64 v[18:19], -v[18:19], v[24:25], v[22:23]
	v_div_fmas_f64 v[18:19], v[18:19], v[20:21], v[24:25]
	s_waitcnt vmcnt(0)
	v_mul_f64 v[20:21], v[7:8], v[3:4]
	v_mul_f64 v[7:8], v[7:8], -v[1:2]
	v_fma_f64 v[1:2], v[1:2], v[5:6], v[20:21]
	v_fma_f64 v[3:4], v[3:4], v[5:6], v[7:8]
	v_div_fixup_f64 v[16:17], v[18:19], v[16:17], 1.0
	v_mul_f64 v[1:2], v[16:17], v[1:2]
	v_mul_f64 v[3:4], v[16:17], v[3:4]
	global_store_dwordx4 v[10:11], v[1:4], off
	v_add_u32_e32 v8, s28, v12
	v_cmp_gt_i32_e32 vcc, s34, v8
	s_and_saveexec_b64 s[2:3], vcc
	s_cbranch_execz .LBB53_23
	s_branch .LBB53_30
.LBB53_29:                              ;   in Loop: Header=BB53_24 Depth=1
	s_mov_b64 s[16:17], -1
	v_add_u32_e32 v8, s28, v12
	v_cmp_gt_i32_e32 vcc, s34, v8
	s_and_saveexec_b64 s[2:3], vcc
	s_cbranch_execz .LBB53_23
.LBB53_30:                              ;   in Loop: Header=BB53_24 Depth=1
	s_mov_b64 s[24:25], 0
	v_mov_b32_e32 v5, v13
	v_mov_b32_e32 v10, v12
	s_branch .LBB53_32
.LBB53_31:                              ;   in Loop: Header=BB53_32 Depth=2
	v_ashrrev_i32_e32 v7, 31, v6
	v_lshlrev_b64 v[6:7], 4, v[6:7]
	v_mov_b32_e32 v11, s11
	v_add_co_u32_e32 v6, vcc, s10, v6
	v_addc_co_u32_e32 v7, vcc, v11, v7, vcc
	global_load_dwordx4 v[16:19], v[6:7], off
	v_ashrrev_i32_e32 v6, 31, v5
	v_lshlrev_b64 v[6:7], 4, v[5:6]
	v_mov_b32_e32 v11, s23
	v_add_co_u32_e32 v6, vcc, s22, v6
	v_addc_co_u32_e32 v7, vcc, v11, v7, vcc
	global_load_dwordx4 v[20:23], v[6:7], off
	v_add_u32_e32 v10, 16, v10
	v_add_u32_e32 v11, s28, v10
	v_cmp_le_i32_e32 vcc, s34, v11
	v_add_u32_e32 v8, 16, v8
	s_or_b64 s[24:25], vcc, s[24:25]
	v_add_u32_e32 v5, s29, v5
	s_waitcnt vmcnt(1)
	v_mul_f64 v[24:25], v[18:19], -v[3:4]
	v_mul_f64 v[18:19], v[1:2], v[18:19]
	v_fma_f64 v[24:25], v[1:2], v[16:17], v[24:25]
	v_fma_f64 v[18:19], v[3:4], v[16:17], v[18:19]
	s_waitcnt vmcnt(0)
	v_add_f64 v[16:17], v[20:21], -v[24:25]
	v_add_f64 v[18:19], v[22:23], -v[18:19]
	global_store_dwordx4 v[6:7], v[16:19], off
	s_andn2_b64 exec, exec, s[24:25]
	s_cbranch_execz .LBB53_23
.LBB53_32:                              ;   Parent Loop BB53_24 Depth=1
                                        ; =>  This Inner Loop Header: Depth=2
	s_and_b64 vcc, exec, s[14:15]
	s_cbranch_vccz .LBB53_34
; %bb.33:                               ;   in Loop: Header=BB53_32 Depth=2
	v_add_u32_e32 v6, s30, v10
	s_cbranch_execnz .LBB53_31
	s_branch .LBB53_35
.LBB53_34:                              ;   in Loop: Header=BB53_32 Depth=2
                                        ; implicit-def: $vgpr6
.LBB53_35:                              ;   in Loop: Header=BB53_32 Depth=2
	v_add_u32_e32 v6, s13, v8
	v_mul_lo_u32 v6, v6, s34
	v_add_u32_e32 v6, s28, v6
	s_branch .LBB53_31
.LBB53_36:
	s_and_b64 s[0:1], s[16:17], exec
.LBB53_37:
	s_or_b64 exec, exec, s[18:19]
	v_cmp_eq_u32_e32 vcc, 0, v0
	s_and_b64 s[2:3], vcc, s[4:5]
	s_waitcnt vmcnt(0)
	buffer_wbinvl1_vol
	s_barrier
	s_and_saveexec_b64 s[4:5], s[2:3]
	s_cbranch_execz .LBB53_41
; %bb.38:
	s_add_i32 s2, s6, s33
	s_ashr_i32 s3, s2, 31
	s_lshl_b64 s[2:3], s[2:3], 2
	s_add_u32 s2, s8, s2
	s_addc_u32 s3, s9, s3
	v_mov_b32_e32 v0, 0
	v_mov_b32_e32 v1, 1
	global_store_dword v0, v1, s[2:3]
	s_and_b64 exec, exec, s[0:1]
	s_cbranch_execz .LBB53_41
; %bb.39:
	v_mbcnt_lo_u32_b32 v0, exec_lo, 0
	v_mbcnt_hi_u32_b32 v0, exec_hi, v0
	v_cmp_eq_u32_e32 vcc, 0, v0
	s_and_b64 exec, exec, vcc
	s_cbranch_execz .LBB53_41
; %bb.40:
	s_add_i32 s0, s6, s12
	v_mov_b32_e32 v0, 0
	v_mov_b32_e32 v1, s0
	global_atomic_smin v0, v1, s[20:21]
.LBB53_41:
	s_endpgm
	.section	.rodata,"a",@progbits
	.p2align	6, 0x0
	.amdhsa_kernel _ZN9rocsparseL24bsrsm_lower_large_kernelILj256ELj16ELb1E21rocsparse_complex_numIdEEEviiPKiS4_PKT2_iPS5_iPiS4_S9_21rocsparse_index_base_20rocsparse_diag_type_20rocsparse_direction_
		.amdhsa_group_segment_fixed_size 0
		.amdhsa_private_segment_fixed_size 0
		.amdhsa_kernarg_size 92
		.amdhsa_user_sgpr_count 6
		.amdhsa_user_sgpr_private_segment_buffer 1
		.amdhsa_user_sgpr_dispatch_ptr 0
		.amdhsa_user_sgpr_queue_ptr 0
		.amdhsa_user_sgpr_kernarg_segment_ptr 1
		.amdhsa_user_sgpr_dispatch_id 0
		.amdhsa_user_sgpr_flat_scratch_init 0
		.amdhsa_user_sgpr_private_segment_size 0
		.amdhsa_uses_dynamic_stack 0
		.amdhsa_system_sgpr_private_segment_wavefront_offset 0
		.amdhsa_system_sgpr_workgroup_id_x 1
		.amdhsa_system_sgpr_workgroup_id_y 0
		.amdhsa_system_sgpr_workgroup_id_z 0
		.amdhsa_system_sgpr_workgroup_info 0
		.amdhsa_system_vgpr_workitem_id 0
		.amdhsa_next_free_vgpr 26
		.amdhsa_next_free_sgpr 42
		.amdhsa_reserve_vcc 1
		.amdhsa_reserve_flat_scratch 0
		.amdhsa_float_round_mode_32 0
		.amdhsa_float_round_mode_16_64 0
		.amdhsa_float_denorm_mode_32 3
		.amdhsa_float_denorm_mode_16_64 3
		.amdhsa_dx10_clamp 1
		.amdhsa_ieee_mode 1
		.amdhsa_fp16_overflow 0
		.amdhsa_exception_fp_ieee_invalid_op 0
		.amdhsa_exception_fp_denorm_src 0
		.amdhsa_exception_fp_ieee_div_zero 0
		.amdhsa_exception_fp_ieee_overflow 0
		.amdhsa_exception_fp_ieee_underflow 0
		.amdhsa_exception_fp_ieee_inexact 0
		.amdhsa_exception_int_div_zero 0
	.end_amdhsa_kernel
	.section	.text._ZN9rocsparseL24bsrsm_lower_large_kernelILj256ELj16ELb1E21rocsparse_complex_numIdEEEviiPKiS4_PKT2_iPS5_iPiS4_S9_21rocsparse_index_base_20rocsparse_diag_type_20rocsparse_direction_,"axG",@progbits,_ZN9rocsparseL24bsrsm_lower_large_kernelILj256ELj16ELb1E21rocsparse_complex_numIdEEEviiPKiS4_PKT2_iPS5_iPiS4_S9_21rocsparse_index_base_20rocsparse_diag_type_20rocsparse_direction_,comdat
.Lfunc_end53:
	.size	_ZN9rocsparseL24bsrsm_lower_large_kernelILj256ELj16ELb1E21rocsparse_complex_numIdEEEviiPKiS4_PKT2_iPS5_iPiS4_S9_21rocsparse_index_base_20rocsparse_diag_type_20rocsparse_direction_, .Lfunc_end53-_ZN9rocsparseL24bsrsm_lower_large_kernelILj256ELj16ELb1E21rocsparse_complex_numIdEEEviiPKiS4_PKT2_iPS5_iPiS4_S9_21rocsparse_index_base_20rocsparse_diag_type_20rocsparse_direction_
                                        ; -- End function
	.set _ZN9rocsparseL24bsrsm_lower_large_kernelILj256ELj16ELb1E21rocsparse_complex_numIdEEEviiPKiS4_PKT2_iPS5_iPiS4_S9_21rocsparse_index_base_20rocsparse_diag_type_20rocsparse_direction_.num_vgpr, 26
	.set _ZN9rocsparseL24bsrsm_lower_large_kernelILj256ELj16ELb1E21rocsparse_complex_numIdEEEviiPKiS4_PKT2_iPS5_iPiS4_S9_21rocsparse_index_base_20rocsparse_diag_type_20rocsparse_direction_.num_agpr, 0
	.set _ZN9rocsparseL24bsrsm_lower_large_kernelILj256ELj16ELb1E21rocsparse_complex_numIdEEEviiPKiS4_PKT2_iPS5_iPiS4_S9_21rocsparse_index_base_20rocsparse_diag_type_20rocsparse_direction_.numbered_sgpr, 42
	.set _ZN9rocsparseL24bsrsm_lower_large_kernelILj256ELj16ELb1E21rocsparse_complex_numIdEEEviiPKiS4_PKT2_iPS5_iPiS4_S9_21rocsparse_index_base_20rocsparse_diag_type_20rocsparse_direction_.num_named_barrier, 0
	.set _ZN9rocsparseL24bsrsm_lower_large_kernelILj256ELj16ELb1E21rocsparse_complex_numIdEEEviiPKiS4_PKT2_iPS5_iPiS4_S9_21rocsparse_index_base_20rocsparse_diag_type_20rocsparse_direction_.private_seg_size, 0
	.set _ZN9rocsparseL24bsrsm_lower_large_kernelILj256ELj16ELb1E21rocsparse_complex_numIdEEEviiPKiS4_PKT2_iPS5_iPiS4_S9_21rocsparse_index_base_20rocsparse_diag_type_20rocsparse_direction_.uses_vcc, 1
	.set _ZN9rocsparseL24bsrsm_lower_large_kernelILj256ELj16ELb1E21rocsparse_complex_numIdEEEviiPKiS4_PKT2_iPS5_iPiS4_S9_21rocsparse_index_base_20rocsparse_diag_type_20rocsparse_direction_.uses_flat_scratch, 0
	.set _ZN9rocsparseL24bsrsm_lower_large_kernelILj256ELj16ELb1E21rocsparse_complex_numIdEEEviiPKiS4_PKT2_iPS5_iPiS4_S9_21rocsparse_index_base_20rocsparse_diag_type_20rocsparse_direction_.has_dyn_sized_stack, 0
	.set _ZN9rocsparseL24bsrsm_lower_large_kernelILj256ELj16ELb1E21rocsparse_complex_numIdEEEviiPKiS4_PKT2_iPS5_iPiS4_S9_21rocsparse_index_base_20rocsparse_diag_type_20rocsparse_direction_.has_recursion, 0
	.set _ZN9rocsparseL24bsrsm_lower_large_kernelILj256ELj16ELb1E21rocsparse_complex_numIdEEEviiPKiS4_PKT2_iPS5_iPiS4_S9_21rocsparse_index_base_20rocsparse_diag_type_20rocsparse_direction_.has_indirect_call, 0
	.section	.AMDGPU.csdata,"",@progbits
; Kernel info:
; codeLenInByte = 1736
; TotalNumSgprs: 46
; NumVgprs: 26
; ScratchSize: 0
; MemoryBound: 0
; FloatMode: 240
; IeeeMode: 1
; LDSByteSize: 0 bytes/workgroup (compile time only)
; SGPRBlocks: 5
; VGPRBlocks: 6
; NumSGPRsForWavesPerEU: 46
; NumVGPRsForWavesPerEU: 26
; Occupancy: 9
; WaveLimiterHint : 1
; COMPUTE_PGM_RSRC2:SCRATCH_EN: 0
; COMPUTE_PGM_RSRC2:USER_SGPR: 6
; COMPUTE_PGM_RSRC2:TRAP_HANDLER: 0
; COMPUTE_PGM_RSRC2:TGID_X_EN: 1
; COMPUTE_PGM_RSRC2:TGID_Y_EN: 0
; COMPUTE_PGM_RSRC2:TGID_Z_EN: 0
; COMPUTE_PGM_RSRC2:TIDIG_COMP_CNT: 0
	.section	.text._ZN9rocsparseL24bsrsm_upper_large_kernelILj64ELj16ELb0E21rocsparse_complex_numIdEEEviiPKiS4_PKT2_iPS5_iPiS4_S9_21rocsparse_index_base_20rocsparse_diag_type_20rocsparse_direction_,"axG",@progbits,_ZN9rocsparseL24bsrsm_upper_large_kernelILj64ELj16ELb0E21rocsparse_complex_numIdEEEviiPKiS4_PKT2_iPS5_iPiS4_S9_21rocsparse_index_base_20rocsparse_diag_type_20rocsparse_direction_,comdat
	.globl	_ZN9rocsparseL24bsrsm_upper_large_kernelILj64ELj16ELb0E21rocsparse_complex_numIdEEEviiPKiS4_PKT2_iPS5_iPiS4_S9_21rocsparse_index_base_20rocsparse_diag_type_20rocsparse_direction_ ; -- Begin function _ZN9rocsparseL24bsrsm_upper_large_kernelILj64ELj16ELb0E21rocsparse_complex_numIdEEEviiPKiS4_PKT2_iPS5_iPiS4_S9_21rocsparse_index_base_20rocsparse_diag_type_20rocsparse_direction_
	.p2align	8
	.type	_ZN9rocsparseL24bsrsm_upper_large_kernelILj64ELj16ELb0E21rocsparse_complex_numIdEEEviiPKiS4_PKT2_iPS5_iPiS4_S9_21rocsparse_index_base_20rocsparse_diag_type_20rocsparse_direction_,@function
_ZN9rocsparseL24bsrsm_upper_large_kernelILj64ELj16ELb0E21rocsparse_complex_numIdEEEviiPKiS4_PKT2_iPS5_iPiS4_S9_21rocsparse_index_base_20rocsparse_diag_type_20rocsparse_direction_: ; @_ZN9rocsparseL24bsrsm_upper_large_kernelILj64ELj16ELb0E21rocsparse_complex_numIdEEEviiPKiS4_PKT2_iPS5_iPiS4_S9_21rocsparse_index_base_20rocsparse_diag_type_20rocsparse_direction_
; %bb.0:
	s_load_dwordx2 s[24:25], s[4:5], 0x0
	s_load_dwordx4 s[16:19], s[4:5], 0x8
	s_load_dwordx4 s[8:11], s[4:5], 0x38
	s_load_dwordx2 s[20:21], s[4:5], 0x48
	v_lshrrev_b32_e32 v8, 2, v0
	v_and_b32_e32 v12, 3, v0
	s_waitcnt lgkmcnt(0)
	v_cvt_f32_u32_e32 v1, s24
	s_sub_i32 s0, 0, s24
	v_rcp_iflag_f32_e32 v1, v1
	v_mul_f32_e32 v1, 0x4f7ffffe, v1
	v_cvt_u32_f32_e32 v1, v1
	v_readfirstlane_b32 s1, v1
	s_mul_i32 s0, s0, s1
	s_mul_hi_u32 s0, s1, s0
	s_add_i32 s1, s1, s0
	s_mul_hi_u32 s0, s6, s1
	s_mul_i32 s1, s0, s24
	s_sub_i32 s1, s6, s1
	s_add_i32 s2, s0, 1
	s_sub_i32 s3, s1, s24
	s_cmp_ge_u32 s1, s24
	s_cselect_b32 s0, s2, s0
	s_cselect_b32 s1, s3, s1
	s_add_i32 s2, s0, 1
	s_cmp_ge_u32 s1, s24
	s_cselect_b32 s26, s2, s0
	s_mul_i32 s33, s26, s24
	s_sub_i32 s0, s6, s33
	s_ashr_i32 s1, s0, 31
	s_lshl_b64 s[0:1], s[0:1], 2
	s_add_u32 s0, s10, s0
	s_addc_u32 s1, s11, s1
	s_load_dword s6, s[0:1], 0x0
	s_load_dwordx2 s[10:11], s[4:5], 0x18
	s_load_dword s34, s[4:5], 0x20
	s_load_dwordx2 s[22:23], s[4:5], 0x28
	s_load_dword s35, s[4:5], 0x30
	s_load_dwordx4 s[12:15], s[4:5], 0x50
	s_waitcnt lgkmcnt(0)
	s_ashr_i32 s7, s6, 31
	s_lshl_b64 s[0:1], s[6:7], 2
	s_add_u32 s0, s16, s0
	s_addc_u32 s1, s17, s1
	s_load_dwordx2 s[2:3], s[0:1], 0x0
	s_lshl_b32 s36, s26, 4
	s_not_b32 s0, s12
	v_or_b32_e32 v9, s36, v8
	v_cmp_gt_i32_e32 vcc, s25, v9
	s_waitcnt lgkmcnt(0)
	s_sub_i32 s15, s2, s12
	s_add_i32 s16, s3, s0
	s_cmp_lt_i32 s16, s15
	s_mul_i32 s7, s6, s34
	v_cmp_eq_u32_e64 s[0:1], 0, v0
	s_cbranch_scc1 .LBB54_17
; %bb.1:
	s_mul_i32 s17, s34, s16
	v_add_u32_e32 v1, s17, v12
	v_mul_lo_u32 v10, s34, v1
	v_cmp_gt_i32_e64 s[2:3], s34, v12
	s_cmp_lg_u32 s14, 0
	s_cselect_b64 s[4:5], -1, 0
	s_and_b64 s[2:3], vcc, s[2:3]
	s_mul_i32 s37, s35, s34
	s_mul_i32 s38, s34, s34
	s_lshl_b32 s39, s34, 2
	v_mov_b32_e32 v11, 0
	s_branch .LBB54_3
.LBB54_2:                               ;   in Loop: Header=BB54_3 Depth=1
                                        ; implicit-def: $vgpr10
	s_and_b64 vcc, exec, s[26:27]
	s_cbranch_vccnz .LBB54_18
.LBB54_3:                               ; =>This Loop Header: Depth=1
                                        ;     Child Loop BB54_6 Depth 2
                                        ;     Child Loop BB54_10 Depth 2
                                        ;       Child Loop BB54_12 Depth 3
	s_ashr_i32 s17, s16, 31
	s_lshl_b64 s[26:27], s[16:17], 2
	s_add_u32 s26, s18, s26
	s_addc_u32 s27, s19, s27
	global_load_dword v1, v11, s[26:27]
	s_mov_b64 s[26:27], -1
	s_waitcnt vmcnt(0)
	v_readfirstlane_b32 s17, v1
	s_sub_i32 s17, s17, s12
	s_cmp_le_i32 s17, s6
	s_cbranch_scc1 .LBB54_2
; %bb.4:                                ;   in Loop: Header=BB54_3 Depth=1
	s_and_saveexec_b64 s[26:27], s[0:1]
	s_cbranch_execz .LBB54_7
; %bb.5:                                ;   in Loop: Header=BB54_3 Depth=1
	s_add_i32 s28, s17, s33
	s_ashr_i32 s29, s28, 31
	s_lshl_b64 s[28:29], s[28:29], 2
	s_add_u32 s28, s8, s28
	s_addc_u32 s29, s9, s29
	global_load_dword v1, v11, s[28:29] glc
	s_waitcnt vmcnt(0)
	v_cmp_ne_u32_e32 vcc, 0, v1
	s_cbranch_vccnz .LBB54_7
.LBB54_6:                               ;   Parent Loop BB54_3 Depth=1
                                        ; =>  This Inner Loop Header: Depth=2
	global_load_dword v1, v11, s[28:29] glc
	s_waitcnt vmcnt(0)
	v_cmp_eq_u32_e32 vcc, 0, v1
	s_cbranch_vccnz .LBB54_6
.LBB54_7:                               ;   in Loop: Header=BB54_3 Depth=1
	s_or_b64 exec, exec, s[26:27]
	buffer_wbinvl1_vol
	; wave barrier
	s_and_saveexec_b64 s[26:27], s[2:3]
	s_cbranch_execz .LBB54_16
; %bb.8:                                ;   in Loop: Header=BB54_3 Depth=1
	s_mul_i32 s28, s37, s17
	s_mul_i32 s40, s16, s34
	v_add_u32_e32 v13, s28, v9
	s_mov_b64 s[28:29], 0
	v_mov_b32_e32 v14, v10
	v_mov_b32_e32 v15, v12
	s_branch .LBB54_10
.LBB54_9:                               ;   in Loop: Header=BB54_10 Depth=2
	v_add_u32_e32 v5, s7, v15
	v_mad_u64_u32 v[5:6], s[30:31], v5, s35, v[9:10]
	v_mov_b32_e32 v7, s23
	v_add_u32_e32 v15, 4, v15
	v_ashrrev_i32_e32 v6, 31, v5
	v_lshlrev_b64 v[5:6], 4, v[5:6]
	v_add_u32_e32 v14, s39, v14
	v_add_co_u32_e32 v20, vcc, s22, v5
	v_addc_co_u32_e32 v21, vcc, v7, v6, vcc
	global_load_dwordx4 v[16:19], v[20:21], off
	v_cmp_le_i32_e32 vcc, s34, v15
	s_or_b64 s[28:29], vcc, s[28:29]
	s_waitcnt vmcnt(0)
	v_add_f64 v[3:4], v[16:17], -v[3:4]
	v_add_f64 v[5:6], v[18:19], -v[1:2]
	global_store_dwordx4 v[20:21], v[3:6], off
	s_andn2_b64 exec, exec, s[28:29]
	s_cbranch_execz .LBB54_16
.LBB54_10:                              ;   Parent Loop BB54_3 Depth=1
                                        ; =>  This Loop Header: Depth=2
                                        ;       Child Loop BB54_12 Depth 3
	v_mov_b32_e32 v1, 0
	v_mov_b32_e32 v3, 0
	;; [unrolled: 1-line block ×3, first 2 shown]
	s_mov_b32 s41, 0
	v_mov_b32_e32 v4, 0
	v_mov_b32_e32 v5, v13
	s_branch .LBB54_12
.LBB54_11:                              ;   in Loop: Header=BB54_12 Depth=3
	v_ashrrev_i32_e32 v7, 31, v6
	v_lshlrev_b64 v[6:7], 4, v[6:7]
	v_mov_b32_e32 v16, s11
	v_add_co_u32_e32 v6, vcc, s10, v6
	v_addc_co_u32_e32 v7, vcc, v16, v7, vcc
	global_load_dwordx4 v[16:19], v[6:7], off
	v_ashrrev_i32_e32 v6, 31, v5
	v_lshlrev_b64 v[6:7], 4, v[5:6]
	v_mov_b32_e32 v20, s23
	v_add_co_u32_e32 v6, vcc, s22, v6
	v_addc_co_u32_e32 v7, vcc, v20, v7, vcc
	global_load_dwordx4 v[20:23], v[6:7], off
	s_add_i32 s41, s41, 1
	s_cmp_eq_u32 s34, s41
	v_add_u32_e32 v5, s35, v5
	s_waitcnt vmcnt(0)
	v_fma_f64 v[3:4], v[16:17], v[20:21], v[3:4]
	v_fma_f64 v[1:2], v[18:19], v[20:21], v[1:2]
	v_fma_f64 v[3:4], -v[18:19], v[22:23], v[3:4]
	v_fma_f64 v[1:2], v[16:17], v[22:23], v[1:2]
	s_cbranch_scc1 .LBB54_9
.LBB54_12:                              ;   Parent Loop BB54_3 Depth=1
                                        ;     Parent Loop BB54_10 Depth=2
                                        ; =>    This Inner Loop Header: Depth=3
	s_and_b64 vcc, exec, s[4:5]
	s_cbranch_vccz .LBB54_14
; %bb.13:                               ;   in Loop: Header=BB54_12 Depth=3
	s_add_i32 s30, s41, s40
	s_mul_i32 s30, s30, s34
	v_add_u32_e32 v6, s30, v15
	s_cbranch_execnz .LBB54_11
	s_branch .LBB54_15
.LBB54_14:                              ;   in Loop: Header=BB54_12 Depth=3
                                        ; implicit-def: $vgpr6
.LBB54_15:                              ;   in Loop: Header=BB54_12 Depth=3
	v_add_u32_e32 v6, s41, v14
	s_branch .LBB54_11
.LBB54_16:                              ;   in Loop: Header=BB54_3 Depth=1
	s_or_b64 exec, exec, s[26:27]
	s_add_i32 s28, s16, -1
	s_cmp_le_i32 s16, s15
	v_subrev_u32_e32 v10, s38, v10
	s_cselect_b64 s[26:27], -1, 0
	s_mov_b32 s16, s28
	s_and_b64 vcc, exec, s[26:27]
	s_cbranch_vccz .LBB54_3
	s_branch .LBB54_18
.LBB54_17:
	s_mov_b32 s17, s24
.LBB54_18:
	s_cmp_lt_i32 s6, s24
	s_cselect_b64 s[4:5], -1, 0
	s_cmp_eq_u32 s6, s17
	s_cselect_b64 s[0:1], -1, 0
	v_cmp_gt_i32_e32 vcc, s25, v9
	s_and_b64 s[0:1], vcc, s[0:1]
	s_cmp_gt_i32 s34, 0
	s_cselect_b64 s[2:3], -1, 0
	s_and_b64 s[0:1], s[0:1], s[2:3]
	s_and_b64 s[2:3], s[0:1], s[4:5]
	s_mov_b64 s[0:1], 0
	s_and_saveexec_b64 s[18:19], s[2:3]
	s_cbranch_execz .LBB54_35
; %bb.19:
	v_add_u32_e32 v1, s7, v12
	s_cmp_eq_u32 s13, 0
	v_mul_lo_u32 v1, s35, v1
	s_cselect_b64 s[0:1], -1, 0
	s_cmp_lg_u32 s14, 0
	s_cselect_b64 s[14:15], -1, 0
	s_add_i32 s2, s16, 1
	s_mul_i32 s2, s34, s2
	v_add3_u32 v13, v8, v1, s36
	s_add_i32 s2, s2, -1
	v_cndmask_b32_e64 v1, 0, 1, s[0:1]
	s_mul_i32 s13, s16, s34
	s_lshl_b32 s28, s35, 2
	s_mul_i32 s29, s34, s2
	s_mov_b64 s[16:17], 0
	v_cmp_ne_u32_e64 s[0:1], 1, v1
	v_mov_b32_e32 v14, 0
	v_mov_b32_e32 v15, s23
	s_mov_b32 s30, s34
	s_and_b64 vcc, exec, s[0:1]
	s_add_i32 s31, s30, -1
	s_cbranch_vccz .LBB54_21
.LBB54_20:
	v_mov_b32_e32 v7, 0
	v_mov_b32_e32 v5, 0
	;; [unrolled: 1-line block ×4, first 2 shown]
	s_branch .LBB54_22
.LBB54_21:
	s_add_i32 s2, s31, s13
	s_mul_i32 s2, s2, s34
	s_add_i32 s2, s2, s31
	s_ashr_i32 s3, s2, 31
	s_lshl_b64 s[2:3], s[2:3], 4
	s_add_u32 s2, s10, s2
	s_addc_u32 s3, s11, s3
	global_load_dwordx4 v[5:8], v14, s[2:3]
.LBB54_22:
	s_add_i32 s2, s31, s7
	s_mul_i32 s2, s2, s35
	s_waitcnt vmcnt(0)
	v_add_u32_e32 v1, s2, v9
	v_ashrrev_i32_e32 v2, 31, v1
	v_lshlrev_b64 v[1:2], 4, v[1:2]
	s_waitcnt vmcnt(0)
	v_cmp_eq_f64_e64 s[2:3], 0, v[7:8]
	v_add_co_u32_e32 v10, vcc, s22, v1
	v_addc_co_u32_e32 v11, vcc, v15, v2, vcc
	global_load_dwordx4 v[1:4], v[10:11], off
	v_cmp_eq_f64_e32 vcc, 0, v[5:6]
	s_and_b64 s[2:3], vcc, s[2:3]
	s_and_b64 vcc, exec, s[2:3]
	s_cbranch_vccnz .LBB54_24
; %bb.23:
	s_waitcnt vmcnt(0)
	v_mul_f64 v[16:17], v[7:8], v[3:4]
	v_fma_f64 v[16:17], v[1:2], v[5:6], v[16:17]
	v_mul_f64 v[1:2], v[7:8], -v[1:2]
	v_fma_f64 v[3:4], v[3:4], v[5:6], v[1:2]
	v_mul_f64 v[1:2], v[7:8], v[7:8]
	v_fma_f64 v[1:2], v[5:6], v[5:6], v[1:2]
	v_div_scale_f64 v[5:6], s[2:3], v[1:2], v[1:2], 1.0
	v_rcp_f64_e32 v[7:8], v[5:6]
	v_fma_f64 v[18:19], -v[5:6], v[7:8], 1.0
	v_fma_f64 v[7:8], v[7:8], v[18:19], v[7:8]
	v_fma_f64 v[18:19], -v[5:6], v[7:8], 1.0
	v_fma_f64 v[7:8], v[7:8], v[18:19], v[7:8]
	v_div_scale_f64 v[18:19], vcc, 1.0, v[1:2], 1.0
	v_mul_f64 v[20:21], v[18:19], v[7:8]
	v_fma_f64 v[5:6], -v[5:6], v[20:21], v[18:19]
	s_nop 1
	v_div_fmas_f64 v[5:6], v[5:6], v[7:8], v[20:21]
	v_div_fixup_f64 v[5:6], v[5:6], v[1:2], 1.0
	v_mul_f64 v[1:2], v[5:6], v[16:17]
	v_mul_f64 v[3:4], v[5:6], v[3:4]
	global_store_dwordx4 v[10:11], v[1:4], off
	v_cmp_gt_i32_e32 vcc, s31, v12
	s_and_saveexec_b64 s[2:3], vcc
	s_cbranch_execnz .LBB54_25
	s_branch .LBB54_31
.LBB54_24:
	s_mov_b64 s[16:17], -1
	v_cmp_gt_i32_e32 vcc, s31, v12
	s_and_saveexec_b64 s[2:3], vcc
	s_cbranch_execz .LBB54_31
.LBB54_25:
	s_mov_b64 s[24:25], 0
	v_mov_b32_e32 v5, v13
	v_mov_b32_e32 v8, v12
	s_branch .LBB54_27
.LBB54_26:                              ;   in Loop: Header=BB54_27 Depth=1
	v_ashrrev_i32_e32 v7, 31, v6
	v_lshlrev_b64 v[6:7], 4, v[6:7]
	v_mov_b32_e32 v10, s11
	v_add_co_u32_e32 v6, vcc, s10, v6
	v_addc_co_u32_e32 v7, vcc, v10, v7, vcc
	global_load_dwordx4 v[16:19], v[6:7], off
	v_add_u32_e32 v8, 4, v8
	s_waitcnt vmcnt(0)
	v_mul_f64 v[6:7], v[18:19], -v[3:4]
	v_fma_f64 v[10:11], v[1:2], v[16:17], v[6:7]
	v_mul_f64 v[6:7], v[1:2], v[18:19]
	v_fma_f64 v[20:21], v[3:4], v[16:17], v[6:7]
	v_ashrrev_i32_e32 v6, 31, v5
	v_lshlrev_b64 v[6:7], 4, v[5:6]
	v_mov_b32_e32 v16, s23
	v_add_co_u32_e32 v6, vcc, s22, v6
	v_addc_co_u32_e32 v7, vcc, v16, v7, vcc
	global_load_dwordx4 v[16:19], v[6:7], off
	v_cmp_le_i32_e32 vcc, s31, v8
	s_or_b64 s[24:25], vcc, s[24:25]
	v_add_u32_e32 v5, s28, v5
	s_waitcnt vmcnt(0)
	v_add_f64 v[16:17], v[16:17], -v[10:11]
	v_add_f64 v[18:19], v[18:19], -v[20:21]
	global_store_dwordx4 v[6:7], v[16:19], off
	s_andn2_b64 exec, exec, s[24:25]
	s_cbranch_execz .LBB54_31
.LBB54_27:                              ; =>This Inner Loop Header: Depth=1
	s_and_b64 vcc, exec, s[14:15]
	s_cbranch_vccz .LBB54_29
; %bb.28:                               ;   in Loop: Header=BB54_27 Depth=1
	v_add_u32_e32 v6, s29, v8
	s_cbranch_execnz .LBB54_26
	s_branch .LBB54_30
.LBB54_29:                              ;   in Loop: Header=BB54_27 Depth=1
                                        ; implicit-def: $vgpr6
.LBB54_30:                              ;   in Loop: Header=BB54_27 Depth=1
	v_add_u32_e32 v6, s13, v8
	v_mul_lo_u32 v6, v6, s34
	v_add_u32_e32 v6, s31, v6
	s_branch .LBB54_26
.LBB54_31:
	s_or_b64 exec, exec, s[2:3]
; %bb.32:
	s_sub_i32 s29, s29, s34
	s_cmp_lt_i32 s30, 2
	s_cbranch_scc1 .LBB54_34
; %bb.33:
	s_mov_b32 s30, s31
	s_and_b64 vcc, exec, s[0:1]
	s_add_i32 s31, s30, -1
	s_cbranch_vccnz .LBB54_20
	s_branch .LBB54_21
.LBB54_34:
	s_and_b64 s[0:1], s[16:17], exec
.LBB54_35:
	s_or_b64 exec, exec, s[18:19]
	v_cmp_eq_u32_e32 vcc, 0, v0
	s_and_b64 s[2:3], vcc, s[4:5]
	s_waitcnt vmcnt(0)
	buffer_wbinvl1_vol
	; wave barrier
	s_and_saveexec_b64 s[4:5], s[2:3]
	s_cbranch_execz .LBB54_39
; %bb.36:
	s_add_i32 s2, s6, s33
	s_ashr_i32 s3, s2, 31
	s_lshl_b64 s[2:3], s[2:3], 2
	s_add_u32 s2, s8, s2
	s_addc_u32 s3, s9, s3
	v_mov_b32_e32 v0, 0
	v_mov_b32_e32 v1, 1
	global_store_dword v0, v1, s[2:3]
	s_and_b64 exec, exec, s[0:1]
	s_cbranch_execz .LBB54_39
; %bb.37:
	v_mbcnt_lo_u32_b32 v0, exec_lo, 0
	v_mbcnt_hi_u32_b32 v0, exec_hi, v0
	v_cmp_eq_u32_e32 vcc, 0, v0
	s_and_b64 exec, exec, vcc
	s_cbranch_execz .LBB54_39
; %bb.38:
	s_add_i32 s0, s6, s12
	v_mov_b32_e32 v0, 0
	v_mov_b32_e32 v1, s0
	global_atomic_smin v0, v1, s[20:21]
.LBB54_39:
	s_endpgm
	.section	.rodata,"a",@progbits
	.p2align	6, 0x0
	.amdhsa_kernel _ZN9rocsparseL24bsrsm_upper_large_kernelILj64ELj16ELb0E21rocsparse_complex_numIdEEEviiPKiS4_PKT2_iPS5_iPiS4_S9_21rocsparse_index_base_20rocsparse_diag_type_20rocsparse_direction_
		.amdhsa_group_segment_fixed_size 0
		.amdhsa_private_segment_fixed_size 0
		.amdhsa_kernarg_size 92
		.amdhsa_user_sgpr_count 6
		.amdhsa_user_sgpr_private_segment_buffer 1
		.amdhsa_user_sgpr_dispatch_ptr 0
		.amdhsa_user_sgpr_queue_ptr 0
		.amdhsa_user_sgpr_kernarg_segment_ptr 1
		.amdhsa_user_sgpr_dispatch_id 0
		.amdhsa_user_sgpr_flat_scratch_init 0
		.amdhsa_user_sgpr_private_segment_size 0
		.amdhsa_uses_dynamic_stack 0
		.amdhsa_system_sgpr_private_segment_wavefront_offset 0
		.amdhsa_system_sgpr_workgroup_id_x 1
		.amdhsa_system_sgpr_workgroup_id_y 0
		.amdhsa_system_sgpr_workgroup_id_z 0
		.amdhsa_system_sgpr_workgroup_info 0
		.amdhsa_system_vgpr_workitem_id 0
		.amdhsa_next_free_vgpr 24
		.amdhsa_next_free_sgpr 42
		.amdhsa_reserve_vcc 1
		.amdhsa_reserve_flat_scratch 0
		.amdhsa_float_round_mode_32 0
		.amdhsa_float_round_mode_16_64 0
		.amdhsa_float_denorm_mode_32 3
		.amdhsa_float_denorm_mode_16_64 3
		.amdhsa_dx10_clamp 1
		.amdhsa_ieee_mode 1
		.amdhsa_fp16_overflow 0
		.amdhsa_exception_fp_ieee_invalid_op 0
		.amdhsa_exception_fp_denorm_src 0
		.amdhsa_exception_fp_ieee_div_zero 0
		.amdhsa_exception_fp_ieee_overflow 0
		.amdhsa_exception_fp_ieee_underflow 0
		.amdhsa_exception_fp_ieee_inexact 0
		.amdhsa_exception_int_div_zero 0
	.end_amdhsa_kernel
	.section	.text._ZN9rocsparseL24bsrsm_upper_large_kernelILj64ELj16ELb0E21rocsparse_complex_numIdEEEviiPKiS4_PKT2_iPS5_iPiS4_S9_21rocsparse_index_base_20rocsparse_diag_type_20rocsparse_direction_,"axG",@progbits,_ZN9rocsparseL24bsrsm_upper_large_kernelILj64ELj16ELb0E21rocsparse_complex_numIdEEEviiPKiS4_PKT2_iPS5_iPiS4_S9_21rocsparse_index_base_20rocsparse_diag_type_20rocsparse_direction_,comdat
.Lfunc_end54:
	.size	_ZN9rocsparseL24bsrsm_upper_large_kernelILj64ELj16ELb0E21rocsparse_complex_numIdEEEviiPKiS4_PKT2_iPS5_iPiS4_S9_21rocsparse_index_base_20rocsparse_diag_type_20rocsparse_direction_, .Lfunc_end54-_ZN9rocsparseL24bsrsm_upper_large_kernelILj64ELj16ELb0E21rocsparse_complex_numIdEEEviiPKiS4_PKT2_iPS5_iPiS4_S9_21rocsparse_index_base_20rocsparse_diag_type_20rocsparse_direction_
                                        ; -- End function
	.set _ZN9rocsparseL24bsrsm_upper_large_kernelILj64ELj16ELb0E21rocsparse_complex_numIdEEEviiPKiS4_PKT2_iPS5_iPiS4_S9_21rocsparse_index_base_20rocsparse_diag_type_20rocsparse_direction_.num_vgpr, 24
	.set _ZN9rocsparseL24bsrsm_upper_large_kernelILj64ELj16ELb0E21rocsparse_complex_numIdEEEviiPKiS4_PKT2_iPS5_iPiS4_S9_21rocsparse_index_base_20rocsparse_diag_type_20rocsparse_direction_.num_agpr, 0
	.set _ZN9rocsparseL24bsrsm_upper_large_kernelILj64ELj16ELb0E21rocsparse_complex_numIdEEEviiPKiS4_PKT2_iPS5_iPiS4_S9_21rocsparse_index_base_20rocsparse_diag_type_20rocsparse_direction_.numbered_sgpr, 42
	.set _ZN9rocsparseL24bsrsm_upper_large_kernelILj64ELj16ELb0E21rocsparse_complex_numIdEEEviiPKiS4_PKT2_iPS5_iPiS4_S9_21rocsparse_index_base_20rocsparse_diag_type_20rocsparse_direction_.num_named_barrier, 0
	.set _ZN9rocsparseL24bsrsm_upper_large_kernelILj64ELj16ELb0E21rocsparse_complex_numIdEEEviiPKiS4_PKT2_iPS5_iPiS4_S9_21rocsparse_index_base_20rocsparse_diag_type_20rocsparse_direction_.private_seg_size, 0
	.set _ZN9rocsparseL24bsrsm_upper_large_kernelILj64ELj16ELb0E21rocsparse_complex_numIdEEEviiPKiS4_PKT2_iPS5_iPiS4_S9_21rocsparse_index_base_20rocsparse_diag_type_20rocsparse_direction_.uses_vcc, 1
	.set _ZN9rocsparseL24bsrsm_upper_large_kernelILj64ELj16ELb0E21rocsparse_complex_numIdEEEviiPKiS4_PKT2_iPS5_iPiS4_S9_21rocsparse_index_base_20rocsparse_diag_type_20rocsparse_direction_.uses_flat_scratch, 0
	.set _ZN9rocsparseL24bsrsm_upper_large_kernelILj64ELj16ELb0E21rocsparse_complex_numIdEEEviiPKiS4_PKT2_iPS5_iPiS4_S9_21rocsparse_index_base_20rocsparse_diag_type_20rocsparse_direction_.has_dyn_sized_stack, 0
	.set _ZN9rocsparseL24bsrsm_upper_large_kernelILj64ELj16ELb0E21rocsparse_complex_numIdEEEviiPKiS4_PKT2_iPS5_iPiS4_S9_21rocsparse_index_base_20rocsparse_diag_type_20rocsparse_direction_.has_recursion, 0
	.set _ZN9rocsparseL24bsrsm_upper_large_kernelILj64ELj16ELb0E21rocsparse_complex_numIdEEEviiPKiS4_PKT2_iPS5_iPiS4_S9_21rocsparse_index_base_20rocsparse_diag_type_20rocsparse_direction_.has_indirect_call, 0
	.section	.AMDGPU.csdata,"",@progbits
; Kernel info:
; codeLenInByte = 1680
; TotalNumSgprs: 46
; NumVgprs: 24
; ScratchSize: 0
; MemoryBound: 0
; FloatMode: 240
; IeeeMode: 1
; LDSByteSize: 0 bytes/workgroup (compile time only)
; SGPRBlocks: 5
; VGPRBlocks: 5
; NumSGPRsForWavesPerEU: 46
; NumVGPRsForWavesPerEU: 24
; Occupancy: 10
; WaveLimiterHint : 1
; COMPUTE_PGM_RSRC2:SCRATCH_EN: 0
; COMPUTE_PGM_RSRC2:USER_SGPR: 6
; COMPUTE_PGM_RSRC2:TRAP_HANDLER: 0
; COMPUTE_PGM_RSRC2:TGID_X_EN: 1
; COMPUTE_PGM_RSRC2:TGID_Y_EN: 0
; COMPUTE_PGM_RSRC2:TGID_Z_EN: 0
; COMPUTE_PGM_RSRC2:TIDIG_COMP_CNT: 0
	.section	.text._ZN9rocsparseL24bsrsm_lower_large_kernelILj64ELj16ELb0E21rocsparse_complex_numIdEEEviiPKiS4_PKT2_iPS5_iPiS4_S9_21rocsparse_index_base_20rocsparse_diag_type_20rocsparse_direction_,"axG",@progbits,_ZN9rocsparseL24bsrsm_lower_large_kernelILj64ELj16ELb0E21rocsparse_complex_numIdEEEviiPKiS4_PKT2_iPS5_iPiS4_S9_21rocsparse_index_base_20rocsparse_diag_type_20rocsparse_direction_,comdat
	.globl	_ZN9rocsparseL24bsrsm_lower_large_kernelILj64ELj16ELb0E21rocsparse_complex_numIdEEEviiPKiS4_PKT2_iPS5_iPiS4_S9_21rocsparse_index_base_20rocsparse_diag_type_20rocsparse_direction_ ; -- Begin function _ZN9rocsparseL24bsrsm_lower_large_kernelILj64ELj16ELb0E21rocsparse_complex_numIdEEEviiPKiS4_PKT2_iPS5_iPiS4_S9_21rocsparse_index_base_20rocsparse_diag_type_20rocsparse_direction_
	.p2align	8
	.type	_ZN9rocsparseL24bsrsm_lower_large_kernelILj64ELj16ELb0E21rocsparse_complex_numIdEEEviiPKiS4_PKT2_iPS5_iPiS4_S9_21rocsparse_index_base_20rocsparse_diag_type_20rocsparse_direction_,@function
_ZN9rocsparseL24bsrsm_lower_large_kernelILj64ELj16ELb0E21rocsparse_complex_numIdEEEviiPKiS4_PKT2_iPS5_iPiS4_S9_21rocsparse_index_base_20rocsparse_diag_type_20rocsparse_direction_: ; @_ZN9rocsparseL24bsrsm_lower_large_kernelILj64ELj16ELb0E21rocsparse_complex_numIdEEEviiPKiS4_PKT2_iPS5_iPiS4_S9_21rocsparse_index_base_20rocsparse_diag_type_20rocsparse_direction_
; %bb.0:
	s_load_dwordx2 s[24:25], s[4:5], 0x0
	s_load_dwordx4 s[16:19], s[4:5], 0x8
	s_load_dwordx4 s[8:11], s[4:5], 0x38
	s_load_dwordx2 s[20:21], s[4:5], 0x48
	v_lshrrev_b32_e32 v10, 2, v0
	v_and_b32_e32 v8, 3, v0
	s_waitcnt lgkmcnt(0)
	v_cvt_f32_u32_e32 v1, s24
	s_sub_i32 s0, 0, s24
	v_rcp_iflag_f32_e32 v1, v1
	v_mul_f32_e32 v1, 0x4f7ffffe, v1
	v_cvt_u32_f32_e32 v1, v1
	v_readfirstlane_b32 s1, v1
	s_mul_i32 s0, s0, s1
	s_mul_hi_u32 s0, s1, s0
	s_add_i32 s1, s1, s0
	s_mul_hi_u32 s0, s6, s1
	s_mul_i32 s1, s0, s24
	s_sub_i32 s1, s6, s1
	s_add_i32 s2, s0, 1
	s_sub_i32 s3, s1, s24
	s_cmp_ge_u32 s1, s24
	s_cselect_b32 s0, s2, s0
	s_cselect_b32 s1, s3, s1
	s_add_i32 s2, s0, 1
	s_cmp_ge_u32 s1, s24
	s_cselect_b32 s26, s2, s0
	s_mul_i32 s33, s26, s24
	s_sub_i32 s0, s6, s33
	s_ashr_i32 s1, s0, 31
	s_lshl_b64 s[0:1], s[0:1], 2
	s_add_u32 s0, s10, s0
	s_addc_u32 s1, s11, s1
	s_load_dword s6, s[0:1], 0x0
	s_load_dwordx2 s[10:11], s[4:5], 0x18
	s_load_dword s34, s[4:5], 0x20
	s_load_dwordx2 s[22:23], s[4:5], 0x28
	s_load_dword s35, s[4:5], 0x30
	s_load_dwordx4 s[12:15], s[4:5], 0x50
	s_waitcnt lgkmcnt(0)
	s_ashr_i32 s7, s6, 31
	s_lshl_b64 s[0:1], s[6:7], 2
	s_add_u32 s0, s16, s0
	s_addc_u32 s1, s17, s1
	s_load_dwordx2 s[2:3], s[0:1], 0x0
	s_lshl_b32 s36, s26, 4
	v_or_b32_e32 v9, s36, v10
	s_mul_i32 s7, s6, s34
	v_cmp_gt_i32_e32 vcc, s25, v9
	s_waitcnt lgkmcnt(0)
	s_sub_i32 s26, s2, s12
	s_cmp_ge_i32 s2, s3
	s_mul_i32 s37, s34, s34
	v_cmp_eq_u32_e64 s[0:1], 0, v0
	s_cbranch_scc1 .LBB55_17
; %bb.1:
	s_mul_i32 s16, s34, s26
	v_add_u32_e32 v1, s16, v8
	v_mul_lo_u32 v11, s34, v1
	s_sub_i32 s15, s3, s12
	v_cmp_gt_i32_e64 s[2:3], s34, v8
	s_cmp_lg_u32 s14, 0
	s_cselect_b64 s[4:5], -1, 0
	s_and_b64 s[2:3], vcc, s[2:3]
	s_mul_i32 s38, s35, s34
	s_lshl_b32 s39, s34, 2
	v_mov_b32_e32 v12, 0
	s_branch .LBB55_3
.LBB55_2:                               ;   in Loop: Header=BB55_3 Depth=1
                                        ; implicit-def: $vgpr11
	s_and_b64 vcc, exec, s[16:17]
	s_cbranch_vccnz .LBB55_18
.LBB55_3:                               ; =>This Loop Header: Depth=1
                                        ;     Child Loop BB55_6 Depth 2
                                        ;     Child Loop BB55_10 Depth 2
                                        ;       Child Loop BB55_12 Depth 3
	s_ashr_i32 s27, s26, 31
	s_lshl_b64 s[16:17], s[26:27], 2
	s_add_u32 s16, s18, s16
	s_addc_u32 s17, s19, s17
	global_load_dword v1, v12, s[16:17]
	s_waitcnt vmcnt(0)
	v_readfirstlane_b32 s16, v1
	s_sub_i32 s27, s16, s12
	s_cmp_ge_i32 s27, s6
	s_mov_b64 s[16:17], -1
	s_cbranch_scc1 .LBB55_2
; %bb.4:                                ;   in Loop: Header=BB55_3 Depth=1
	s_and_saveexec_b64 s[16:17], s[0:1]
	s_cbranch_execz .LBB55_7
; %bb.5:                                ;   in Loop: Header=BB55_3 Depth=1
	s_add_i32 s28, s27, s33
	s_ashr_i32 s29, s28, 31
	s_lshl_b64 s[28:29], s[28:29], 2
	s_add_u32 s28, s8, s28
	s_addc_u32 s29, s9, s29
	global_load_dword v1, v12, s[28:29] glc
	s_waitcnt vmcnt(0)
	v_cmp_ne_u32_e32 vcc, 0, v1
	s_cbranch_vccnz .LBB55_7
.LBB55_6:                               ;   Parent Loop BB55_3 Depth=1
                                        ; =>  This Inner Loop Header: Depth=2
	global_load_dword v1, v12, s[28:29] glc
	s_waitcnt vmcnt(0)
	v_cmp_eq_u32_e32 vcc, 0, v1
	s_cbranch_vccnz .LBB55_6
.LBB55_7:                               ;   in Loop: Header=BB55_3 Depth=1
	s_or_b64 exec, exec, s[16:17]
	buffer_wbinvl1_vol
	; wave barrier
	s_and_saveexec_b64 s[16:17], s[2:3]
	s_cbranch_execz .LBB55_16
; %bb.8:                                ;   in Loop: Header=BB55_3 Depth=1
	s_mul_i32 s28, s38, s27
	s_mul_i32 s40, s26, s34
	v_add_u32_e32 v13, s28, v9
	s_mov_b64 s[28:29], 0
	v_mov_b32_e32 v14, v11
	v_mov_b32_e32 v15, v8
	s_branch .LBB55_10
.LBB55_9:                               ;   in Loop: Header=BB55_10 Depth=2
	v_add_u32_e32 v5, s7, v15
	v_mad_u64_u32 v[5:6], s[30:31], v5, s35, v[9:10]
	v_mov_b32_e32 v7, s23
	v_add_u32_e32 v15, 4, v15
	v_ashrrev_i32_e32 v6, 31, v5
	v_lshlrev_b64 v[5:6], 4, v[5:6]
	v_add_u32_e32 v14, s39, v14
	v_add_co_u32_e32 v20, vcc, s22, v5
	v_addc_co_u32_e32 v21, vcc, v7, v6, vcc
	global_load_dwordx4 v[16:19], v[20:21], off
	v_cmp_le_i32_e32 vcc, s34, v15
	s_or_b64 s[28:29], vcc, s[28:29]
	s_waitcnt vmcnt(0)
	v_add_f64 v[3:4], v[16:17], -v[3:4]
	v_add_f64 v[5:6], v[18:19], -v[1:2]
	global_store_dwordx4 v[20:21], v[3:6], off
	s_andn2_b64 exec, exec, s[28:29]
	s_cbranch_execz .LBB55_16
.LBB55_10:                              ;   Parent Loop BB55_3 Depth=1
                                        ; =>  This Loop Header: Depth=2
                                        ;       Child Loop BB55_12 Depth 3
	v_mov_b32_e32 v1, 0
	v_mov_b32_e32 v3, 0
	;; [unrolled: 1-line block ×3, first 2 shown]
	s_mov_b32 s41, 0
	v_mov_b32_e32 v4, 0
	v_mov_b32_e32 v5, v13
	s_branch .LBB55_12
.LBB55_11:                              ;   in Loop: Header=BB55_12 Depth=3
	v_ashrrev_i32_e32 v7, 31, v6
	v_lshlrev_b64 v[6:7], 4, v[6:7]
	v_mov_b32_e32 v16, s11
	v_add_co_u32_e32 v6, vcc, s10, v6
	v_addc_co_u32_e32 v7, vcc, v16, v7, vcc
	global_load_dwordx4 v[16:19], v[6:7], off
	v_ashrrev_i32_e32 v6, 31, v5
	v_lshlrev_b64 v[6:7], 4, v[5:6]
	v_mov_b32_e32 v20, s23
	v_add_co_u32_e32 v6, vcc, s22, v6
	v_addc_co_u32_e32 v7, vcc, v20, v7, vcc
	global_load_dwordx4 v[20:23], v[6:7], off
	s_add_i32 s41, s41, 1
	s_cmp_eq_u32 s34, s41
	v_add_u32_e32 v5, s35, v5
	s_waitcnt vmcnt(0)
	v_fma_f64 v[3:4], v[16:17], v[20:21], v[3:4]
	v_fma_f64 v[1:2], v[18:19], v[20:21], v[1:2]
	v_fma_f64 v[3:4], -v[18:19], v[22:23], v[3:4]
	v_fma_f64 v[1:2], v[16:17], v[22:23], v[1:2]
	s_cbranch_scc1 .LBB55_9
.LBB55_12:                              ;   Parent Loop BB55_3 Depth=1
                                        ;     Parent Loop BB55_10 Depth=2
                                        ; =>    This Inner Loop Header: Depth=3
	s_and_b64 vcc, exec, s[4:5]
	s_cbranch_vccz .LBB55_14
; %bb.13:                               ;   in Loop: Header=BB55_12 Depth=3
	s_add_i32 s30, s41, s40
	s_mul_i32 s30, s30, s34
	v_add_u32_e32 v6, s30, v15
	s_cbranch_execnz .LBB55_11
	s_branch .LBB55_15
.LBB55_14:                              ;   in Loop: Header=BB55_12 Depth=3
                                        ; implicit-def: $vgpr6
.LBB55_15:                              ;   in Loop: Header=BB55_12 Depth=3
	v_add_u32_e32 v6, s41, v14
	s_branch .LBB55_11
.LBB55_16:                              ;   in Loop: Header=BB55_3 Depth=1
	s_or_b64 exec, exec, s[16:17]
	s_add_i32 s26, s26, 1
	s_cmp_ge_i32 s26, s15
	v_add_u32_e32 v11, s37, v11
	s_cselect_b64 s[16:17], -1, 0
	s_and_b64 vcc, exec, s[16:17]
	s_cbranch_vccz .LBB55_3
	s_branch .LBB55_18
.LBB55_17:
	s_mov_b32 s27, s24
.LBB55_18:
	s_cmp_lt_i32 s6, s24
	s_cselect_b64 s[4:5], -1, 0
	s_cmp_eq_u32 s6, s27
	s_cselect_b64 s[0:1], -1, 0
	v_cmp_gt_i32_e32 vcc, s25, v9
	s_and_b64 s[0:1], vcc, s[0:1]
	s_cmp_gt_i32 s34, 0
	s_cselect_b64 s[2:3], -1, 0
	s_and_b64 s[0:1], s[0:1], s[2:3]
	s_mov_b32 s28, 0
	s_and_b64 s[2:3], s[0:1], s[4:5]
	s_mov_b64 s[0:1], 0
	s_and_saveexec_b64 s[16:17], s[2:3]
	s_cbranch_execz .LBB55_34
; %bb.19:
	v_add_u32_e32 v1, s7, v8
	v_mul_lo_u32 v1, s35, v1
	s_cmp_eq_u32 s13, 0
	s_cselect_b64 s[0:1], -1, 0
	s_cmp_lg_u32 s14, 0
	v_add_u32_e32 v1, s35, v1
	v_add3_u32 v13, v10, v1, s36
	v_cndmask_b32_e64 v1, 0, 1, s[0:1]
	s_cselect_b64 s[14:15], -1, 0
	v_add_u32_e32 v12, 1, v8
	s_mul_i32 s13, s26, s34
	s_lshl_b32 s29, s35, 2
	s_mul_i32 s30, s26, s37
	s_add_i32 s31, s34, 1
	s_mov_b64 s[18:19], 0
	v_cmp_ne_u32_e64 s[0:1], 1, v1
	v_mov_b32_e32 v14, 0
	v_mov_b32_e32 v15, s23
	s_branch .LBB55_21
.LBB55_20:                              ;   in Loop: Header=BB55_21 Depth=1
	s_or_b64 exec, exec, s[2:3]
	s_add_i32 s28, s28, 1
	s_add_i32 s30, s30, s31
	s_cmp_eq_u32 s28, s34
	v_add_u32_e32 v13, s35, v13
	s_cbranch_scc1 .LBB55_33
.LBB55_21:                              ; =>This Loop Header: Depth=1
                                        ;     Child Loop BB55_29 Depth 2
	s_and_b64 vcc, exec, s[0:1]
	s_cbranch_vccz .LBB55_23
; %bb.22:                               ;   in Loop: Header=BB55_21 Depth=1
	v_mov_b32_e32 v7, 0
	v_mov_b32_e32 v5, 0
	;; [unrolled: 1-line block ×4, first 2 shown]
	s_branch .LBB55_24
.LBB55_23:                              ;   in Loop: Header=BB55_21 Depth=1
	s_add_i32 s2, s28, s13
	s_mul_i32 s2, s2, s34
	s_add_i32 s2, s2, s28
	s_ashr_i32 s3, s2, 31
	s_lshl_b64 s[2:3], s[2:3], 4
	s_add_u32 s2, s10, s2
	s_addc_u32 s3, s11, s3
	global_load_dwordx4 v[5:8], v14, s[2:3]
.LBB55_24:                              ;   in Loop: Header=BB55_21 Depth=1
	s_add_i32 s2, s28, s7
	s_mul_i32 s2, s2, s35
	s_waitcnt vmcnt(0)
	v_add_u32_e32 v1, s2, v9
	v_ashrrev_i32_e32 v2, 31, v1
	v_lshlrev_b64 v[1:2], 4, v[1:2]
	s_waitcnt vmcnt(0)
	v_cmp_eq_f64_e64 s[2:3], 0, v[7:8]
	v_add_co_u32_e32 v10, vcc, s22, v1
	v_addc_co_u32_e32 v11, vcc, v15, v2, vcc
	global_load_dwordx4 v[1:4], v[10:11], off
	v_cmp_eq_f64_e32 vcc, 0, v[5:6]
	s_and_b64 s[2:3], vcc, s[2:3]
	s_and_b64 vcc, exec, s[2:3]
	s_cbranch_vccnz .LBB55_26
; %bb.25:                               ;   in Loop: Header=BB55_21 Depth=1
	v_mul_f64 v[16:17], v[7:8], v[7:8]
	v_fma_f64 v[16:17], v[5:6], v[5:6], v[16:17]
	v_div_scale_f64 v[18:19], s[2:3], v[16:17], v[16:17], 1.0
	v_rcp_f64_e32 v[20:21], v[18:19]
	v_fma_f64 v[22:23], -v[18:19], v[20:21], 1.0
	v_fma_f64 v[20:21], v[20:21], v[22:23], v[20:21]
	v_div_scale_f64 v[22:23], vcc, 1.0, v[16:17], 1.0
	v_fma_f64 v[24:25], -v[18:19], v[20:21], 1.0
	v_fma_f64 v[20:21], v[20:21], v[24:25], v[20:21]
	v_mul_f64 v[24:25], v[22:23], v[20:21]
	v_fma_f64 v[18:19], -v[18:19], v[24:25], v[22:23]
	v_div_fmas_f64 v[18:19], v[18:19], v[20:21], v[24:25]
	s_waitcnt vmcnt(0)
	v_mul_f64 v[20:21], v[7:8], v[3:4]
	v_mul_f64 v[7:8], v[7:8], -v[1:2]
	v_fma_f64 v[1:2], v[1:2], v[5:6], v[20:21]
	v_fma_f64 v[3:4], v[3:4], v[5:6], v[7:8]
	v_div_fixup_f64 v[16:17], v[18:19], v[16:17], 1.0
	v_mul_f64 v[1:2], v[16:17], v[1:2]
	v_mul_f64 v[3:4], v[16:17], v[3:4]
	global_store_dwordx4 v[10:11], v[1:4], off
	v_add_u32_e32 v8, s28, v12
	v_cmp_gt_i32_e32 vcc, s34, v8
	s_and_saveexec_b64 s[2:3], vcc
	s_cbranch_execz .LBB55_20
	s_branch .LBB55_27
.LBB55_26:                              ;   in Loop: Header=BB55_21 Depth=1
	s_mov_b64 s[18:19], -1
	v_add_u32_e32 v8, s28, v12
	v_cmp_gt_i32_e32 vcc, s34, v8
	s_and_saveexec_b64 s[2:3], vcc
	s_cbranch_execz .LBB55_20
.LBB55_27:                              ;   in Loop: Header=BB55_21 Depth=1
	s_mov_b64 s[24:25], 0
	v_mov_b32_e32 v5, v13
	v_mov_b32_e32 v10, v12
	s_branch .LBB55_29
.LBB55_28:                              ;   in Loop: Header=BB55_29 Depth=2
	v_ashrrev_i32_e32 v7, 31, v6
	v_lshlrev_b64 v[6:7], 4, v[6:7]
	v_mov_b32_e32 v11, s11
	v_add_co_u32_e32 v6, vcc, s10, v6
	v_addc_co_u32_e32 v7, vcc, v11, v7, vcc
	global_load_dwordx4 v[16:19], v[6:7], off
	v_ashrrev_i32_e32 v6, 31, v5
	v_lshlrev_b64 v[6:7], 4, v[5:6]
	v_mov_b32_e32 v11, s23
	v_add_co_u32_e32 v6, vcc, s22, v6
	v_addc_co_u32_e32 v7, vcc, v11, v7, vcc
	global_load_dwordx4 v[20:23], v[6:7], off
	v_add_u32_e32 v10, 4, v10
	v_add_u32_e32 v11, s28, v10
	v_cmp_le_i32_e32 vcc, s34, v11
	v_add_u32_e32 v8, 4, v8
	s_or_b64 s[24:25], vcc, s[24:25]
	v_add_u32_e32 v5, s29, v5
	s_waitcnt vmcnt(1)
	v_mul_f64 v[24:25], v[18:19], -v[3:4]
	v_mul_f64 v[18:19], v[1:2], v[18:19]
	v_fma_f64 v[24:25], v[1:2], v[16:17], v[24:25]
	v_fma_f64 v[18:19], v[3:4], v[16:17], v[18:19]
	s_waitcnt vmcnt(0)
	v_add_f64 v[16:17], v[20:21], -v[24:25]
	v_add_f64 v[18:19], v[22:23], -v[18:19]
	global_store_dwordx4 v[6:7], v[16:19], off
	s_andn2_b64 exec, exec, s[24:25]
	s_cbranch_execz .LBB55_20
.LBB55_29:                              ;   Parent Loop BB55_21 Depth=1
                                        ; =>  This Inner Loop Header: Depth=2
	s_and_b64 vcc, exec, s[14:15]
	s_cbranch_vccz .LBB55_31
; %bb.30:                               ;   in Loop: Header=BB55_29 Depth=2
	v_add_u32_e32 v6, s30, v10
	s_cbranch_execnz .LBB55_28
	s_branch .LBB55_32
.LBB55_31:                              ;   in Loop: Header=BB55_29 Depth=2
                                        ; implicit-def: $vgpr6
.LBB55_32:                              ;   in Loop: Header=BB55_29 Depth=2
	v_add_u32_e32 v6, s13, v8
	v_mul_lo_u32 v6, v6, s34
	v_add_u32_e32 v6, s28, v6
	s_branch .LBB55_28
.LBB55_33:
	s_and_b64 s[0:1], s[18:19], exec
.LBB55_34:
	s_or_b64 exec, exec, s[16:17]
	v_cmp_eq_u32_e32 vcc, 0, v0
	s_and_b64 s[2:3], vcc, s[4:5]
	s_waitcnt vmcnt(0)
	buffer_wbinvl1_vol
	; wave barrier
	s_and_saveexec_b64 s[4:5], s[2:3]
	s_cbranch_execz .LBB55_38
; %bb.35:
	s_add_i32 s2, s6, s33
	s_ashr_i32 s3, s2, 31
	s_lshl_b64 s[2:3], s[2:3], 2
	s_add_u32 s2, s8, s2
	s_addc_u32 s3, s9, s3
	v_mov_b32_e32 v0, 0
	v_mov_b32_e32 v1, 1
	global_store_dword v0, v1, s[2:3]
	s_and_b64 exec, exec, s[0:1]
	s_cbranch_execz .LBB55_38
; %bb.36:
	v_mbcnt_lo_u32_b32 v0, exec_lo, 0
	v_mbcnt_hi_u32_b32 v0, exec_hi, v0
	v_cmp_eq_u32_e32 vcc, 0, v0
	s_and_b64 exec, exec, vcc
	s_cbranch_execz .LBB55_38
; %bb.37:
	s_add_i32 s0, s6, s12
	v_mov_b32_e32 v0, 0
	v_mov_b32_e32 v1, s0
	global_atomic_smin v0, v1, s[20:21]
.LBB55_38:
	s_endpgm
	.section	.rodata,"a",@progbits
	.p2align	6, 0x0
	.amdhsa_kernel _ZN9rocsparseL24bsrsm_lower_large_kernelILj64ELj16ELb0E21rocsparse_complex_numIdEEEviiPKiS4_PKT2_iPS5_iPiS4_S9_21rocsparse_index_base_20rocsparse_diag_type_20rocsparse_direction_
		.amdhsa_group_segment_fixed_size 0
		.amdhsa_private_segment_fixed_size 0
		.amdhsa_kernarg_size 92
		.amdhsa_user_sgpr_count 6
		.amdhsa_user_sgpr_private_segment_buffer 1
		.amdhsa_user_sgpr_dispatch_ptr 0
		.amdhsa_user_sgpr_queue_ptr 0
		.amdhsa_user_sgpr_kernarg_segment_ptr 1
		.amdhsa_user_sgpr_dispatch_id 0
		.amdhsa_user_sgpr_flat_scratch_init 0
		.amdhsa_user_sgpr_private_segment_size 0
		.amdhsa_uses_dynamic_stack 0
		.amdhsa_system_sgpr_private_segment_wavefront_offset 0
		.amdhsa_system_sgpr_workgroup_id_x 1
		.amdhsa_system_sgpr_workgroup_id_y 0
		.amdhsa_system_sgpr_workgroup_id_z 0
		.amdhsa_system_sgpr_workgroup_info 0
		.amdhsa_system_vgpr_workitem_id 0
		.amdhsa_next_free_vgpr 26
		.amdhsa_next_free_sgpr 42
		.amdhsa_reserve_vcc 1
		.amdhsa_reserve_flat_scratch 0
		.amdhsa_float_round_mode_32 0
		.amdhsa_float_round_mode_16_64 0
		.amdhsa_float_denorm_mode_32 3
		.amdhsa_float_denorm_mode_16_64 3
		.amdhsa_dx10_clamp 1
		.amdhsa_ieee_mode 1
		.amdhsa_fp16_overflow 0
		.amdhsa_exception_fp_ieee_invalid_op 0
		.amdhsa_exception_fp_denorm_src 0
		.amdhsa_exception_fp_ieee_div_zero 0
		.amdhsa_exception_fp_ieee_overflow 0
		.amdhsa_exception_fp_ieee_underflow 0
		.amdhsa_exception_fp_ieee_inexact 0
		.amdhsa_exception_int_div_zero 0
	.end_amdhsa_kernel
	.section	.text._ZN9rocsparseL24bsrsm_lower_large_kernelILj64ELj16ELb0E21rocsparse_complex_numIdEEEviiPKiS4_PKT2_iPS5_iPiS4_S9_21rocsparse_index_base_20rocsparse_diag_type_20rocsparse_direction_,"axG",@progbits,_ZN9rocsparseL24bsrsm_lower_large_kernelILj64ELj16ELb0E21rocsparse_complex_numIdEEEviiPKiS4_PKT2_iPS5_iPiS4_S9_21rocsparse_index_base_20rocsparse_diag_type_20rocsparse_direction_,comdat
.Lfunc_end55:
	.size	_ZN9rocsparseL24bsrsm_lower_large_kernelILj64ELj16ELb0E21rocsparse_complex_numIdEEEviiPKiS4_PKT2_iPS5_iPiS4_S9_21rocsparse_index_base_20rocsparse_diag_type_20rocsparse_direction_, .Lfunc_end55-_ZN9rocsparseL24bsrsm_lower_large_kernelILj64ELj16ELb0E21rocsparse_complex_numIdEEEviiPKiS4_PKT2_iPS5_iPiS4_S9_21rocsparse_index_base_20rocsparse_diag_type_20rocsparse_direction_
                                        ; -- End function
	.set _ZN9rocsparseL24bsrsm_lower_large_kernelILj64ELj16ELb0E21rocsparse_complex_numIdEEEviiPKiS4_PKT2_iPS5_iPiS4_S9_21rocsparse_index_base_20rocsparse_diag_type_20rocsparse_direction_.num_vgpr, 26
	.set _ZN9rocsparseL24bsrsm_lower_large_kernelILj64ELj16ELb0E21rocsparse_complex_numIdEEEviiPKiS4_PKT2_iPS5_iPiS4_S9_21rocsparse_index_base_20rocsparse_diag_type_20rocsparse_direction_.num_agpr, 0
	.set _ZN9rocsparseL24bsrsm_lower_large_kernelILj64ELj16ELb0E21rocsparse_complex_numIdEEEviiPKiS4_PKT2_iPS5_iPiS4_S9_21rocsparse_index_base_20rocsparse_diag_type_20rocsparse_direction_.numbered_sgpr, 42
	.set _ZN9rocsparseL24bsrsm_lower_large_kernelILj64ELj16ELb0E21rocsparse_complex_numIdEEEviiPKiS4_PKT2_iPS5_iPiS4_S9_21rocsparse_index_base_20rocsparse_diag_type_20rocsparse_direction_.num_named_barrier, 0
	.set _ZN9rocsparseL24bsrsm_lower_large_kernelILj64ELj16ELb0E21rocsparse_complex_numIdEEEviiPKiS4_PKT2_iPS5_iPiS4_S9_21rocsparse_index_base_20rocsparse_diag_type_20rocsparse_direction_.private_seg_size, 0
	.set _ZN9rocsparseL24bsrsm_lower_large_kernelILj64ELj16ELb0E21rocsparse_complex_numIdEEEviiPKiS4_PKT2_iPS5_iPiS4_S9_21rocsparse_index_base_20rocsparse_diag_type_20rocsparse_direction_.uses_vcc, 1
	.set _ZN9rocsparseL24bsrsm_lower_large_kernelILj64ELj16ELb0E21rocsparse_complex_numIdEEEviiPKiS4_PKT2_iPS5_iPiS4_S9_21rocsparse_index_base_20rocsparse_diag_type_20rocsparse_direction_.uses_flat_scratch, 0
	.set _ZN9rocsparseL24bsrsm_lower_large_kernelILj64ELj16ELb0E21rocsparse_complex_numIdEEEviiPKiS4_PKT2_iPS5_iPiS4_S9_21rocsparse_index_base_20rocsparse_diag_type_20rocsparse_direction_.has_dyn_sized_stack, 0
	.set _ZN9rocsparseL24bsrsm_lower_large_kernelILj64ELj16ELb0E21rocsparse_complex_numIdEEEviiPKiS4_PKT2_iPS5_iPiS4_S9_21rocsparse_index_base_20rocsparse_diag_type_20rocsparse_direction_.has_recursion, 0
	.set _ZN9rocsparseL24bsrsm_lower_large_kernelILj64ELj16ELb0E21rocsparse_complex_numIdEEEviiPKiS4_PKT2_iPS5_iPiS4_S9_21rocsparse_index_base_20rocsparse_diag_type_20rocsparse_direction_.has_indirect_call, 0
	.section	.AMDGPU.csdata,"",@progbits
; Kernel info:
; codeLenInByte = 1672
; TotalNumSgprs: 46
; NumVgprs: 26
; ScratchSize: 0
; MemoryBound: 0
; FloatMode: 240
; IeeeMode: 1
; LDSByteSize: 0 bytes/workgroup (compile time only)
; SGPRBlocks: 5
; VGPRBlocks: 6
; NumSGPRsForWavesPerEU: 46
; NumVGPRsForWavesPerEU: 26
; Occupancy: 9
; WaveLimiterHint : 1
; COMPUTE_PGM_RSRC2:SCRATCH_EN: 0
; COMPUTE_PGM_RSRC2:USER_SGPR: 6
; COMPUTE_PGM_RSRC2:TRAP_HANDLER: 0
; COMPUTE_PGM_RSRC2:TGID_X_EN: 1
; COMPUTE_PGM_RSRC2:TGID_Y_EN: 0
; COMPUTE_PGM_RSRC2:TGID_Z_EN: 0
; COMPUTE_PGM_RSRC2:TIDIG_COMP_CNT: 0
	.section	.text._ZN9rocsparseL24bsrsm_upper_large_kernelILj128ELj16ELb0E21rocsparse_complex_numIdEEEviiPKiS4_PKT2_iPS5_iPiS4_S9_21rocsparse_index_base_20rocsparse_diag_type_20rocsparse_direction_,"axG",@progbits,_ZN9rocsparseL24bsrsm_upper_large_kernelILj128ELj16ELb0E21rocsparse_complex_numIdEEEviiPKiS4_PKT2_iPS5_iPiS4_S9_21rocsparse_index_base_20rocsparse_diag_type_20rocsparse_direction_,comdat
	.globl	_ZN9rocsparseL24bsrsm_upper_large_kernelILj128ELj16ELb0E21rocsparse_complex_numIdEEEviiPKiS4_PKT2_iPS5_iPiS4_S9_21rocsparse_index_base_20rocsparse_diag_type_20rocsparse_direction_ ; -- Begin function _ZN9rocsparseL24bsrsm_upper_large_kernelILj128ELj16ELb0E21rocsparse_complex_numIdEEEviiPKiS4_PKT2_iPS5_iPiS4_S9_21rocsparse_index_base_20rocsparse_diag_type_20rocsparse_direction_
	.p2align	8
	.type	_ZN9rocsparseL24bsrsm_upper_large_kernelILj128ELj16ELb0E21rocsparse_complex_numIdEEEviiPKiS4_PKT2_iPS5_iPiS4_S9_21rocsparse_index_base_20rocsparse_diag_type_20rocsparse_direction_,@function
_ZN9rocsparseL24bsrsm_upper_large_kernelILj128ELj16ELb0E21rocsparse_complex_numIdEEEviiPKiS4_PKT2_iPS5_iPiS4_S9_21rocsparse_index_base_20rocsparse_diag_type_20rocsparse_direction_: ; @_ZN9rocsparseL24bsrsm_upper_large_kernelILj128ELj16ELb0E21rocsparse_complex_numIdEEEviiPKiS4_PKT2_iPS5_iPiS4_S9_21rocsparse_index_base_20rocsparse_diag_type_20rocsparse_direction_
; %bb.0:
	s_load_dwordx2 s[24:25], s[4:5], 0x0
	s_load_dwordx4 s[16:19], s[4:5], 0x8
	s_load_dwordx4 s[8:11], s[4:5], 0x38
	s_load_dwordx2 s[20:21], s[4:5], 0x48
	v_lshrrev_b32_e32 v8, 3, v0
	v_and_b32_e32 v12, 7, v0
	s_waitcnt lgkmcnt(0)
	v_cvt_f32_u32_e32 v1, s24
	s_sub_i32 s0, 0, s24
	v_rcp_iflag_f32_e32 v1, v1
	v_mul_f32_e32 v1, 0x4f7ffffe, v1
	v_cvt_u32_f32_e32 v1, v1
	v_readfirstlane_b32 s1, v1
	s_mul_i32 s0, s0, s1
	s_mul_hi_u32 s0, s1, s0
	s_add_i32 s1, s1, s0
	s_mul_hi_u32 s0, s6, s1
	s_mul_i32 s1, s0, s24
	s_sub_i32 s1, s6, s1
	s_add_i32 s2, s0, 1
	s_sub_i32 s3, s1, s24
	s_cmp_ge_u32 s1, s24
	s_cselect_b32 s0, s2, s0
	s_cselect_b32 s1, s3, s1
	s_add_i32 s2, s0, 1
	s_cmp_ge_u32 s1, s24
	s_cselect_b32 s26, s2, s0
	s_mul_i32 s33, s26, s24
	s_sub_i32 s0, s6, s33
	s_ashr_i32 s1, s0, 31
	s_lshl_b64 s[0:1], s[0:1], 2
	s_add_u32 s0, s10, s0
	s_addc_u32 s1, s11, s1
	s_load_dword s6, s[0:1], 0x0
	s_load_dwordx2 s[10:11], s[4:5], 0x18
	s_load_dword s34, s[4:5], 0x20
	s_load_dwordx2 s[22:23], s[4:5], 0x28
	s_load_dword s35, s[4:5], 0x30
	s_load_dwordx4 s[12:15], s[4:5], 0x50
	s_waitcnt lgkmcnt(0)
	s_ashr_i32 s7, s6, 31
	s_lshl_b64 s[0:1], s[6:7], 2
	s_add_u32 s0, s16, s0
	s_addc_u32 s1, s17, s1
	s_load_dwordx2 s[2:3], s[0:1], 0x0
	s_lshl_b32 s36, s26, 4
	s_not_b32 s0, s12
	v_or_b32_e32 v9, s36, v8
	v_cmp_gt_i32_e32 vcc, s25, v9
	s_waitcnt lgkmcnt(0)
	s_sub_i32 s15, s2, s12
	s_add_i32 s16, s3, s0
	s_cmp_lt_i32 s16, s15
	s_mul_i32 s7, s6, s34
	v_cmp_eq_u32_e64 s[0:1], 0, v0
	s_cbranch_scc1 .LBB56_17
; %bb.1:
	s_mul_i32 s17, s34, s16
	v_add_u32_e32 v1, s17, v12
	v_mul_lo_u32 v10, s34, v1
	v_cmp_gt_i32_e64 s[2:3], s34, v12
	s_cmp_lg_u32 s14, 0
	s_cselect_b64 s[4:5], -1, 0
	s_and_b64 s[2:3], vcc, s[2:3]
	s_mul_i32 s37, s35, s34
	s_mul_i32 s38, s34, s34
	s_lshl_b32 s39, s34, 3
	v_mov_b32_e32 v11, 0
	s_branch .LBB56_3
.LBB56_2:                               ;   in Loop: Header=BB56_3 Depth=1
                                        ; implicit-def: $vgpr10
	s_and_b64 vcc, exec, s[26:27]
	s_cbranch_vccnz .LBB56_18
.LBB56_3:                               ; =>This Loop Header: Depth=1
                                        ;     Child Loop BB56_6 Depth 2
                                        ;     Child Loop BB56_10 Depth 2
                                        ;       Child Loop BB56_12 Depth 3
	s_ashr_i32 s17, s16, 31
	s_lshl_b64 s[26:27], s[16:17], 2
	s_add_u32 s26, s18, s26
	s_addc_u32 s27, s19, s27
	global_load_dword v1, v11, s[26:27]
	s_mov_b64 s[26:27], -1
	s_waitcnt vmcnt(0)
	v_readfirstlane_b32 s17, v1
	s_sub_i32 s17, s17, s12
	s_cmp_le_i32 s17, s6
	s_cbranch_scc1 .LBB56_2
; %bb.4:                                ;   in Loop: Header=BB56_3 Depth=1
	s_and_saveexec_b64 s[26:27], s[0:1]
	s_cbranch_execz .LBB56_7
; %bb.5:                                ;   in Loop: Header=BB56_3 Depth=1
	s_add_i32 s28, s17, s33
	s_ashr_i32 s29, s28, 31
	s_lshl_b64 s[28:29], s[28:29], 2
	s_add_u32 s28, s8, s28
	s_addc_u32 s29, s9, s29
	global_load_dword v1, v11, s[28:29] glc
	s_waitcnt vmcnt(0)
	v_cmp_ne_u32_e32 vcc, 0, v1
	s_cbranch_vccnz .LBB56_7
.LBB56_6:                               ;   Parent Loop BB56_3 Depth=1
                                        ; =>  This Inner Loop Header: Depth=2
	global_load_dword v1, v11, s[28:29] glc
	s_waitcnt vmcnt(0)
	v_cmp_eq_u32_e32 vcc, 0, v1
	s_cbranch_vccnz .LBB56_6
.LBB56_7:                               ;   in Loop: Header=BB56_3 Depth=1
	s_or_b64 exec, exec, s[26:27]
	buffer_wbinvl1_vol
	s_barrier
	s_and_saveexec_b64 s[26:27], s[2:3]
	s_cbranch_execz .LBB56_16
; %bb.8:                                ;   in Loop: Header=BB56_3 Depth=1
	s_mul_i32 s28, s37, s17
	s_mul_i32 s40, s16, s34
	v_add_u32_e32 v13, s28, v9
	s_mov_b64 s[28:29], 0
	v_mov_b32_e32 v14, v10
	v_mov_b32_e32 v15, v12
	s_branch .LBB56_10
.LBB56_9:                               ;   in Loop: Header=BB56_10 Depth=2
	v_add_u32_e32 v5, s7, v15
	v_mad_u64_u32 v[5:6], s[30:31], v5, s35, v[9:10]
	v_mov_b32_e32 v7, s23
	v_add_u32_e32 v15, 8, v15
	v_ashrrev_i32_e32 v6, 31, v5
	v_lshlrev_b64 v[5:6], 4, v[5:6]
	v_add_u32_e32 v14, s39, v14
	v_add_co_u32_e32 v20, vcc, s22, v5
	v_addc_co_u32_e32 v21, vcc, v7, v6, vcc
	global_load_dwordx4 v[16:19], v[20:21], off
	v_cmp_le_i32_e32 vcc, s34, v15
	s_or_b64 s[28:29], vcc, s[28:29]
	s_waitcnt vmcnt(0)
	v_add_f64 v[3:4], v[16:17], -v[3:4]
	v_add_f64 v[5:6], v[18:19], -v[1:2]
	global_store_dwordx4 v[20:21], v[3:6], off
	s_andn2_b64 exec, exec, s[28:29]
	s_cbranch_execz .LBB56_16
.LBB56_10:                              ;   Parent Loop BB56_3 Depth=1
                                        ; =>  This Loop Header: Depth=2
                                        ;       Child Loop BB56_12 Depth 3
	v_mov_b32_e32 v1, 0
	v_mov_b32_e32 v3, 0
	;; [unrolled: 1-line block ×3, first 2 shown]
	s_mov_b32 s41, 0
	v_mov_b32_e32 v4, 0
	v_mov_b32_e32 v5, v13
	s_branch .LBB56_12
.LBB56_11:                              ;   in Loop: Header=BB56_12 Depth=3
	v_ashrrev_i32_e32 v7, 31, v6
	v_lshlrev_b64 v[6:7], 4, v[6:7]
	v_mov_b32_e32 v16, s11
	v_add_co_u32_e32 v6, vcc, s10, v6
	v_addc_co_u32_e32 v7, vcc, v16, v7, vcc
	global_load_dwordx4 v[16:19], v[6:7], off
	v_ashrrev_i32_e32 v6, 31, v5
	v_lshlrev_b64 v[6:7], 4, v[5:6]
	v_mov_b32_e32 v20, s23
	v_add_co_u32_e32 v6, vcc, s22, v6
	v_addc_co_u32_e32 v7, vcc, v20, v7, vcc
	global_load_dwordx4 v[20:23], v[6:7], off
	s_add_i32 s41, s41, 1
	s_cmp_eq_u32 s34, s41
	v_add_u32_e32 v5, s35, v5
	s_waitcnt vmcnt(0)
	v_fma_f64 v[3:4], v[16:17], v[20:21], v[3:4]
	v_fma_f64 v[1:2], v[18:19], v[20:21], v[1:2]
	v_fma_f64 v[3:4], -v[18:19], v[22:23], v[3:4]
	v_fma_f64 v[1:2], v[16:17], v[22:23], v[1:2]
	s_cbranch_scc1 .LBB56_9
.LBB56_12:                              ;   Parent Loop BB56_3 Depth=1
                                        ;     Parent Loop BB56_10 Depth=2
                                        ; =>    This Inner Loop Header: Depth=3
	s_and_b64 vcc, exec, s[4:5]
	s_cbranch_vccz .LBB56_14
; %bb.13:                               ;   in Loop: Header=BB56_12 Depth=3
	s_add_i32 s30, s41, s40
	s_mul_i32 s30, s30, s34
	v_add_u32_e32 v6, s30, v15
	s_cbranch_execnz .LBB56_11
	s_branch .LBB56_15
.LBB56_14:                              ;   in Loop: Header=BB56_12 Depth=3
                                        ; implicit-def: $vgpr6
.LBB56_15:                              ;   in Loop: Header=BB56_12 Depth=3
	v_add_u32_e32 v6, s41, v14
	s_branch .LBB56_11
.LBB56_16:                              ;   in Loop: Header=BB56_3 Depth=1
	s_or_b64 exec, exec, s[26:27]
	s_add_i32 s28, s16, -1
	s_cmp_le_i32 s16, s15
	v_subrev_u32_e32 v10, s38, v10
	s_cselect_b64 s[26:27], -1, 0
	s_mov_b32 s16, s28
	s_and_b64 vcc, exec, s[26:27]
	s_cbranch_vccz .LBB56_3
	s_branch .LBB56_18
.LBB56_17:
	s_mov_b32 s17, s24
.LBB56_18:
	s_cmp_lt_i32 s6, s24
	s_cselect_b64 s[4:5], -1, 0
	s_cmp_eq_u32 s6, s17
	s_cselect_b64 s[0:1], -1, 0
	v_cmp_gt_i32_e32 vcc, s25, v9
	s_and_b64 s[0:1], vcc, s[0:1]
	s_cmp_gt_i32 s34, 0
	s_cselect_b64 s[2:3], -1, 0
	s_and_b64 s[0:1], s[0:1], s[2:3]
	s_and_b64 s[2:3], s[0:1], s[4:5]
	s_mov_b64 s[0:1], 0
	s_and_saveexec_b64 s[18:19], s[2:3]
	s_cbranch_execz .LBB56_35
; %bb.19:
	v_add_u32_e32 v1, s7, v12
	s_cmp_eq_u32 s13, 0
	v_mul_lo_u32 v1, s35, v1
	s_cselect_b64 s[0:1], -1, 0
	s_cmp_lg_u32 s14, 0
	s_cselect_b64 s[14:15], -1, 0
	s_add_i32 s2, s16, 1
	s_mul_i32 s2, s34, s2
	v_add3_u32 v13, v8, v1, s36
	s_add_i32 s2, s2, -1
	v_cndmask_b32_e64 v1, 0, 1, s[0:1]
	s_mul_i32 s13, s16, s34
	s_lshl_b32 s28, s35, 3
	s_mul_i32 s29, s34, s2
	s_mov_b64 s[16:17], 0
	v_cmp_ne_u32_e64 s[0:1], 1, v1
	v_mov_b32_e32 v14, 0
	v_mov_b32_e32 v15, s23
	s_mov_b32 s30, s34
	s_and_b64 vcc, exec, s[0:1]
	s_add_i32 s31, s30, -1
	s_cbranch_vccz .LBB56_21
.LBB56_20:
	v_mov_b32_e32 v7, 0
	v_mov_b32_e32 v5, 0
	;; [unrolled: 1-line block ×4, first 2 shown]
	s_branch .LBB56_22
.LBB56_21:
	s_add_i32 s2, s31, s13
	s_mul_i32 s2, s2, s34
	s_add_i32 s2, s2, s31
	s_ashr_i32 s3, s2, 31
	s_lshl_b64 s[2:3], s[2:3], 4
	s_add_u32 s2, s10, s2
	s_addc_u32 s3, s11, s3
	global_load_dwordx4 v[5:8], v14, s[2:3]
.LBB56_22:
	s_add_i32 s2, s31, s7
	s_mul_i32 s2, s2, s35
	s_waitcnt vmcnt(0)
	v_add_u32_e32 v1, s2, v9
	v_ashrrev_i32_e32 v2, 31, v1
	v_lshlrev_b64 v[1:2], 4, v[1:2]
	s_waitcnt vmcnt(0)
	v_cmp_eq_f64_e64 s[2:3], 0, v[7:8]
	v_add_co_u32_e32 v10, vcc, s22, v1
	v_addc_co_u32_e32 v11, vcc, v15, v2, vcc
	global_load_dwordx4 v[1:4], v[10:11], off
	v_cmp_eq_f64_e32 vcc, 0, v[5:6]
	s_and_b64 s[2:3], vcc, s[2:3]
	s_and_b64 vcc, exec, s[2:3]
	s_cbranch_vccnz .LBB56_24
; %bb.23:
	s_waitcnt vmcnt(0)
	v_mul_f64 v[16:17], v[7:8], v[3:4]
	v_fma_f64 v[16:17], v[1:2], v[5:6], v[16:17]
	v_mul_f64 v[1:2], v[7:8], -v[1:2]
	v_fma_f64 v[3:4], v[3:4], v[5:6], v[1:2]
	v_mul_f64 v[1:2], v[7:8], v[7:8]
	v_fma_f64 v[1:2], v[5:6], v[5:6], v[1:2]
	v_div_scale_f64 v[5:6], s[2:3], v[1:2], v[1:2], 1.0
	v_rcp_f64_e32 v[7:8], v[5:6]
	v_fma_f64 v[18:19], -v[5:6], v[7:8], 1.0
	v_fma_f64 v[7:8], v[7:8], v[18:19], v[7:8]
	v_fma_f64 v[18:19], -v[5:6], v[7:8], 1.0
	v_fma_f64 v[7:8], v[7:8], v[18:19], v[7:8]
	v_div_scale_f64 v[18:19], vcc, 1.0, v[1:2], 1.0
	v_mul_f64 v[20:21], v[18:19], v[7:8]
	v_fma_f64 v[5:6], -v[5:6], v[20:21], v[18:19]
	s_nop 1
	v_div_fmas_f64 v[5:6], v[5:6], v[7:8], v[20:21]
	v_div_fixup_f64 v[5:6], v[5:6], v[1:2], 1.0
	v_mul_f64 v[1:2], v[5:6], v[16:17]
	v_mul_f64 v[3:4], v[5:6], v[3:4]
	global_store_dwordx4 v[10:11], v[1:4], off
	v_cmp_gt_i32_e32 vcc, s31, v12
	s_and_saveexec_b64 s[2:3], vcc
	s_cbranch_execnz .LBB56_25
	s_branch .LBB56_31
.LBB56_24:
	s_mov_b64 s[16:17], -1
	v_cmp_gt_i32_e32 vcc, s31, v12
	s_and_saveexec_b64 s[2:3], vcc
	s_cbranch_execz .LBB56_31
.LBB56_25:
	s_mov_b64 s[24:25], 0
	v_mov_b32_e32 v5, v13
	v_mov_b32_e32 v8, v12
	s_branch .LBB56_27
.LBB56_26:                              ;   in Loop: Header=BB56_27 Depth=1
	v_ashrrev_i32_e32 v7, 31, v6
	v_lshlrev_b64 v[6:7], 4, v[6:7]
	v_mov_b32_e32 v10, s11
	v_add_co_u32_e32 v6, vcc, s10, v6
	v_addc_co_u32_e32 v7, vcc, v10, v7, vcc
	global_load_dwordx4 v[16:19], v[6:7], off
	v_add_u32_e32 v8, 8, v8
	s_waitcnt vmcnt(0)
	v_mul_f64 v[6:7], v[18:19], -v[3:4]
	v_fma_f64 v[10:11], v[1:2], v[16:17], v[6:7]
	v_mul_f64 v[6:7], v[1:2], v[18:19]
	v_fma_f64 v[20:21], v[3:4], v[16:17], v[6:7]
	v_ashrrev_i32_e32 v6, 31, v5
	v_lshlrev_b64 v[6:7], 4, v[5:6]
	v_mov_b32_e32 v16, s23
	v_add_co_u32_e32 v6, vcc, s22, v6
	v_addc_co_u32_e32 v7, vcc, v16, v7, vcc
	global_load_dwordx4 v[16:19], v[6:7], off
	v_cmp_le_i32_e32 vcc, s31, v8
	s_or_b64 s[24:25], vcc, s[24:25]
	v_add_u32_e32 v5, s28, v5
	s_waitcnt vmcnt(0)
	v_add_f64 v[16:17], v[16:17], -v[10:11]
	v_add_f64 v[18:19], v[18:19], -v[20:21]
	global_store_dwordx4 v[6:7], v[16:19], off
	s_andn2_b64 exec, exec, s[24:25]
	s_cbranch_execz .LBB56_31
.LBB56_27:                              ; =>This Inner Loop Header: Depth=1
	s_and_b64 vcc, exec, s[14:15]
	s_cbranch_vccz .LBB56_29
; %bb.28:                               ;   in Loop: Header=BB56_27 Depth=1
	v_add_u32_e32 v6, s29, v8
	s_cbranch_execnz .LBB56_26
	s_branch .LBB56_30
.LBB56_29:                              ;   in Loop: Header=BB56_27 Depth=1
                                        ; implicit-def: $vgpr6
.LBB56_30:                              ;   in Loop: Header=BB56_27 Depth=1
	v_add_u32_e32 v6, s13, v8
	v_mul_lo_u32 v6, v6, s34
	v_add_u32_e32 v6, s31, v6
	s_branch .LBB56_26
.LBB56_31:
	s_or_b64 exec, exec, s[2:3]
; %bb.32:
	s_sub_i32 s29, s29, s34
	s_cmp_lt_i32 s30, 2
	s_cbranch_scc1 .LBB56_34
; %bb.33:
	s_mov_b32 s30, s31
	s_and_b64 vcc, exec, s[0:1]
	s_add_i32 s31, s30, -1
	s_cbranch_vccnz .LBB56_20
	s_branch .LBB56_21
.LBB56_34:
	s_and_b64 s[0:1], s[16:17], exec
.LBB56_35:
	s_or_b64 exec, exec, s[18:19]
	v_cmp_eq_u32_e32 vcc, 0, v0
	s_and_b64 s[2:3], vcc, s[4:5]
	s_waitcnt vmcnt(0)
	buffer_wbinvl1_vol
	s_barrier
	s_and_saveexec_b64 s[4:5], s[2:3]
	s_cbranch_execz .LBB56_39
; %bb.36:
	s_add_i32 s2, s6, s33
	s_ashr_i32 s3, s2, 31
	s_lshl_b64 s[2:3], s[2:3], 2
	s_add_u32 s2, s8, s2
	s_addc_u32 s3, s9, s3
	v_mov_b32_e32 v0, 0
	v_mov_b32_e32 v1, 1
	global_store_dword v0, v1, s[2:3]
	s_and_b64 exec, exec, s[0:1]
	s_cbranch_execz .LBB56_39
; %bb.37:
	v_mbcnt_lo_u32_b32 v0, exec_lo, 0
	v_mbcnt_hi_u32_b32 v0, exec_hi, v0
	v_cmp_eq_u32_e32 vcc, 0, v0
	s_and_b64 exec, exec, vcc
	s_cbranch_execz .LBB56_39
; %bb.38:
	s_add_i32 s0, s6, s12
	v_mov_b32_e32 v0, 0
	v_mov_b32_e32 v1, s0
	global_atomic_smin v0, v1, s[20:21]
.LBB56_39:
	s_endpgm
	.section	.rodata,"a",@progbits
	.p2align	6, 0x0
	.amdhsa_kernel _ZN9rocsparseL24bsrsm_upper_large_kernelILj128ELj16ELb0E21rocsparse_complex_numIdEEEviiPKiS4_PKT2_iPS5_iPiS4_S9_21rocsparse_index_base_20rocsparse_diag_type_20rocsparse_direction_
		.amdhsa_group_segment_fixed_size 0
		.amdhsa_private_segment_fixed_size 0
		.amdhsa_kernarg_size 92
		.amdhsa_user_sgpr_count 6
		.amdhsa_user_sgpr_private_segment_buffer 1
		.amdhsa_user_sgpr_dispatch_ptr 0
		.amdhsa_user_sgpr_queue_ptr 0
		.amdhsa_user_sgpr_kernarg_segment_ptr 1
		.amdhsa_user_sgpr_dispatch_id 0
		.amdhsa_user_sgpr_flat_scratch_init 0
		.amdhsa_user_sgpr_private_segment_size 0
		.amdhsa_uses_dynamic_stack 0
		.amdhsa_system_sgpr_private_segment_wavefront_offset 0
		.amdhsa_system_sgpr_workgroup_id_x 1
		.amdhsa_system_sgpr_workgroup_id_y 0
		.amdhsa_system_sgpr_workgroup_id_z 0
		.amdhsa_system_sgpr_workgroup_info 0
		.amdhsa_system_vgpr_workitem_id 0
		.amdhsa_next_free_vgpr 24
		.amdhsa_next_free_sgpr 42
		.amdhsa_reserve_vcc 1
		.amdhsa_reserve_flat_scratch 0
		.amdhsa_float_round_mode_32 0
		.amdhsa_float_round_mode_16_64 0
		.amdhsa_float_denorm_mode_32 3
		.amdhsa_float_denorm_mode_16_64 3
		.amdhsa_dx10_clamp 1
		.amdhsa_ieee_mode 1
		.amdhsa_fp16_overflow 0
		.amdhsa_exception_fp_ieee_invalid_op 0
		.amdhsa_exception_fp_denorm_src 0
		.amdhsa_exception_fp_ieee_div_zero 0
		.amdhsa_exception_fp_ieee_overflow 0
		.amdhsa_exception_fp_ieee_underflow 0
		.amdhsa_exception_fp_ieee_inexact 0
		.amdhsa_exception_int_div_zero 0
	.end_amdhsa_kernel
	.section	.text._ZN9rocsparseL24bsrsm_upper_large_kernelILj128ELj16ELb0E21rocsparse_complex_numIdEEEviiPKiS4_PKT2_iPS5_iPiS4_S9_21rocsparse_index_base_20rocsparse_diag_type_20rocsparse_direction_,"axG",@progbits,_ZN9rocsparseL24bsrsm_upper_large_kernelILj128ELj16ELb0E21rocsparse_complex_numIdEEEviiPKiS4_PKT2_iPS5_iPiS4_S9_21rocsparse_index_base_20rocsparse_diag_type_20rocsparse_direction_,comdat
.Lfunc_end56:
	.size	_ZN9rocsparseL24bsrsm_upper_large_kernelILj128ELj16ELb0E21rocsparse_complex_numIdEEEviiPKiS4_PKT2_iPS5_iPiS4_S9_21rocsparse_index_base_20rocsparse_diag_type_20rocsparse_direction_, .Lfunc_end56-_ZN9rocsparseL24bsrsm_upper_large_kernelILj128ELj16ELb0E21rocsparse_complex_numIdEEEviiPKiS4_PKT2_iPS5_iPiS4_S9_21rocsparse_index_base_20rocsparse_diag_type_20rocsparse_direction_
                                        ; -- End function
	.set _ZN9rocsparseL24bsrsm_upper_large_kernelILj128ELj16ELb0E21rocsparse_complex_numIdEEEviiPKiS4_PKT2_iPS5_iPiS4_S9_21rocsparse_index_base_20rocsparse_diag_type_20rocsparse_direction_.num_vgpr, 24
	.set _ZN9rocsparseL24bsrsm_upper_large_kernelILj128ELj16ELb0E21rocsparse_complex_numIdEEEviiPKiS4_PKT2_iPS5_iPiS4_S9_21rocsparse_index_base_20rocsparse_diag_type_20rocsparse_direction_.num_agpr, 0
	.set _ZN9rocsparseL24bsrsm_upper_large_kernelILj128ELj16ELb0E21rocsparse_complex_numIdEEEviiPKiS4_PKT2_iPS5_iPiS4_S9_21rocsparse_index_base_20rocsparse_diag_type_20rocsparse_direction_.numbered_sgpr, 42
	.set _ZN9rocsparseL24bsrsm_upper_large_kernelILj128ELj16ELb0E21rocsparse_complex_numIdEEEviiPKiS4_PKT2_iPS5_iPiS4_S9_21rocsparse_index_base_20rocsparse_diag_type_20rocsparse_direction_.num_named_barrier, 0
	.set _ZN9rocsparseL24bsrsm_upper_large_kernelILj128ELj16ELb0E21rocsparse_complex_numIdEEEviiPKiS4_PKT2_iPS5_iPiS4_S9_21rocsparse_index_base_20rocsparse_diag_type_20rocsparse_direction_.private_seg_size, 0
	.set _ZN9rocsparseL24bsrsm_upper_large_kernelILj128ELj16ELb0E21rocsparse_complex_numIdEEEviiPKiS4_PKT2_iPS5_iPiS4_S9_21rocsparse_index_base_20rocsparse_diag_type_20rocsparse_direction_.uses_vcc, 1
	.set _ZN9rocsparseL24bsrsm_upper_large_kernelILj128ELj16ELb0E21rocsparse_complex_numIdEEEviiPKiS4_PKT2_iPS5_iPiS4_S9_21rocsparse_index_base_20rocsparse_diag_type_20rocsparse_direction_.uses_flat_scratch, 0
	.set _ZN9rocsparseL24bsrsm_upper_large_kernelILj128ELj16ELb0E21rocsparse_complex_numIdEEEviiPKiS4_PKT2_iPS5_iPiS4_S9_21rocsparse_index_base_20rocsparse_diag_type_20rocsparse_direction_.has_dyn_sized_stack, 0
	.set _ZN9rocsparseL24bsrsm_upper_large_kernelILj128ELj16ELb0E21rocsparse_complex_numIdEEEviiPKiS4_PKT2_iPS5_iPiS4_S9_21rocsparse_index_base_20rocsparse_diag_type_20rocsparse_direction_.has_recursion, 0
	.set _ZN9rocsparseL24bsrsm_upper_large_kernelILj128ELj16ELb0E21rocsparse_complex_numIdEEEviiPKiS4_PKT2_iPS5_iPiS4_S9_21rocsparse_index_base_20rocsparse_diag_type_20rocsparse_direction_.has_indirect_call, 0
	.section	.AMDGPU.csdata,"",@progbits
; Kernel info:
; codeLenInByte = 1688
; TotalNumSgprs: 46
; NumVgprs: 24
; ScratchSize: 0
; MemoryBound: 0
; FloatMode: 240
; IeeeMode: 1
; LDSByteSize: 0 bytes/workgroup (compile time only)
; SGPRBlocks: 5
; VGPRBlocks: 5
; NumSGPRsForWavesPerEU: 46
; NumVGPRsForWavesPerEU: 24
; Occupancy: 10
; WaveLimiterHint : 1
; COMPUTE_PGM_RSRC2:SCRATCH_EN: 0
; COMPUTE_PGM_RSRC2:USER_SGPR: 6
; COMPUTE_PGM_RSRC2:TRAP_HANDLER: 0
; COMPUTE_PGM_RSRC2:TGID_X_EN: 1
; COMPUTE_PGM_RSRC2:TGID_Y_EN: 0
; COMPUTE_PGM_RSRC2:TGID_Z_EN: 0
; COMPUTE_PGM_RSRC2:TIDIG_COMP_CNT: 0
	.section	.text._ZN9rocsparseL24bsrsm_lower_large_kernelILj128ELj16ELb0E21rocsparse_complex_numIdEEEviiPKiS4_PKT2_iPS5_iPiS4_S9_21rocsparse_index_base_20rocsparse_diag_type_20rocsparse_direction_,"axG",@progbits,_ZN9rocsparseL24bsrsm_lower_large_kernelILj128ELj16ELb0E21rocsparse_complex_numIdEEEviiPKiS4_PKT2_iPS5_iPiS4_S9_21rocsparse_index_base_20rocsparse_diag_type_20rocsparse_direction_,comdat
	.globl	_ZN9rocsparseL24bsrsm_lower_large_kernelILj128ELj16ELb0E21rocsparse_complex_numIdEEEviiPKiS4_PKT2_iPS5_iPiS4_S9_21rocsparse_index_base_20rocsparse_diag_type_20rocsparse_direction_ ; -- Begin function _ZN9rocsparseL24bsrsm_lower_large_kernelILj128ELj16ELb0E21rocsparse_complex_numIdEEEviiPKiS4_PKT2_iPS5_iPiS4_S9_21rocsparse_index_base_20rocsparse_diag_type_20rocsparse_direction_
	.p2align	8
	.type	_ZN9rocsparseL24bsrsm_lower_large_kernelILj128ELj16ELb0E21rocsparse_complex_numIdEEEviiPKiS4_PKT2_iPS5_iPiS4_S9_21rocsparse_index_base_20rocsparse_diag_type_20rocsparse_direction_,@function
_ZN9rocsparseL24bsrsm_lower_large_kernelILj128ELj16ELb0E21rocsparse_complex_numIdEEEviiPKiS4_PKT2_iPS5_iPiS4_S9_21rocsparse_index_base_20rocsparse_diag_type_20rocsparse_direction_: ; @_ZN9rocsparseL24bsrsm_lower_large_kernelILj128ELj16ELb0E21rocsparse_complex_numIdEEEviiPKiS4_PKT2_iPS5_iPiS4_S9_21rocsparse_index_base_20rocsparse_diag_type_20rocsparse_direction_
; %bb.0:
	s_load_dwordx2 s[24:25], s[4:5], 0x0
	s_load_dwordx4 s[16:19], s[4:5], 0x8
	s_load_dwordx4 s[8:11], s[4:5], 0x38
	s_load_dwordx2 s[20:21], s[4:5], 0x48
	v_lshrrev_b32_e32 v10, 3, v0
	v_and_b32_e32 v8, 7, v0
	s_waitcnt lgkmcnt(0)
	v_cvt_f32_u32_e32 v1, s24
	s_sub_i32 s0, 0, s24
	v_rcp_iflag_f32_e32 v1, v1
	v_mul_f32_e32 v1, 0x4f7ffffe, v1
	v_cvt_u32_f32_e32 v1, v1
	v_readfirstlane_b32 s1, v1
	s_mul_i32 s0, s0, s1
	s_mul_hi_u32 s0, s1, s0
	s_add_i32 s1, s1, s0
	s_mul_hi_u32 s0, s6, s1
	s_mul_i32 s1, s0, s24
	s_sub_i32 s1, s6, s1
	s_add_i32 s2, s0, 1
	s_sub_i32 s3, s1, s24
	s_cmp_ge_u32 s1, s24
	s_cselect_b32 s0, s2, s0
	s_cselect_b32 s1, s3, s1
	s_add_i32 s2, s0, 1
	s_cmp_ge_u32 s1, s24
	s_cselect_b32 s26, s2, s0
	s_mul_i32 s33, s26, s24
	s_sub_i32 s0, s6, s33
	s_ashr_i32 s1, s0, 31
	s_lshl_b64 s[0:1], s[0:1], 2
	s_add_u32 s0, s10, s0
	s_addc_u32 s1, s11, s1
	s_load_dword s6, s[0:1], 0x0
	s_load_dwordx2 s[10:11], s[4:5], 0x18
	s_load_dword s34, s[4:5], 0x20
	s_load_dwordx2 s[22:23], s[4:5], 0x28
	s_load_dword s35, s[4:5], 0x30
	s_load_dwordx4 s[12:15], s[4:5], 0x50
	s_waitcnt lgkmcnt(0)
	s_ashr_i32 s7, s6, 31
	s_lshl_b64 s[0:1], s[6:7], 2
	s_add_u32 s0, s16, s0
	s_addc_u32 s1, s17, s1
	s_load_dwordx2 s[2:3], s[0:1], 0x0
	s_lshl_b32 s36, s26, 4
	v_or_b32_e32 v9, s36, v10
	s_mul_i32 s7, s6, s34
	v_cmp_gt_i32_e32 vcc, s25, v9
	s_waitcnt lgkmcnt(0)
	s_sub_i32 s26, s2, s12
	s_cmp_ge_i32 s2, s3
	s_mul_i32 s37, s34, s34
	v_cmp_eq_u32_e64 s[0:1], 0, v0
	s_cbranch_scc1 .LBB57_17
; %bb.1:
	s_mul_i32 s16, s34, s26
	v_add_u32_e32 v1, s16, v8
	v_mul_lo_u32 v11, s34, v1
	s_sub_i32 s15, s3, s12
	v_cmp_gt_i32_e64 s[2:3], s34, v8
	s_cmp_lg_u32 s14, 0
	s_cselect_b64 s[4:5], -1, 0
	s_and_b64 s[2:3], vcc, s[2:3]
	s_mul_i32 s38, s35, s34
	s_lshl_b32 s39, s34, 3
	v_mov_b32_e32 v12, 0
	s_branch .LBB57_3
.LBB57_2:                               ;   in Loop: Header=BB57_3 Depth=1
                                        ; implicit-def: $vgpr11
	s_and_b64 vcc, exec, s[16:17]
	s_cbranch_vccnz .LBB57_18
.LBB57_3:                               ; =>This Loop Header: Depth=1
                                        ;     Child Loop BB57_6 Depth 2
                                        ;     Child Loop BB57_10 Depth 2
                                        ;       Child Loop BB57_12 Depth 3
	s_ashr_i32 s27, s26, 31
	s_lshl_b64 s[16:17], s[26:27], 2
	s_add_u32 s16, s18, s16
	s_addc_u32 s17, s19, s17
	global_load_dword v1, v12, s[16:17]
	s_waitcnt vmcnt(0)
	v_readfirstlane_b32 s16, v1
	s_sub_i32 s27, s16, s12
	s_cmp_ge_i32 s27, s6
	s_mov_b64 s[16:17], -1
	s_cbranch_scc1 .LBB57_2
; %bb.4:                                ;   in Loop: Header=BB57_3 Depth=1
	s_and_saveexec_b64 s[16:17], s[0:1]
	s_cbranch_execz .LBB57_7
; %bb.5:                                ;   in Loop: Header=BB57_3 Depth=1
	s_add_i32 s28, s27, s33
	s_ashr_i32 s29, s28, 31
	s_lshl_b64 s[28:29], s[28:29], 2
	s_add_u32 s28, s8, s28
	s_addc_u32 s29, s9, s29
	global_load_dword v1, v12, s[28:29] glc
	s_waitcnt vmcnt(0)
	v_cmp_ne_u32_e32 vcc, 0, v1
	s_cbranch_vccnz .LBB57_7
.LBB57_6:                               ;   Parent Loop BB57_3 Depth=1
                                        ; =>  This Inner Loop Header: Depth=2
	global_load_dword v1, v12, s[28:29] glc
	s_waitcnt vmcnt(0)
	v_cmp_eq_u32_e32 vcc, 0, v1
	s_cbranch_vccnz .LBB57_6
.LBB57_7:                               ;   in Loop: Header=BB57_3 Depth=1
	s_or_b64 exec, exec, s[16:17]
	buffer_wbinvl1_vol
	s_barrier
	s_and_saveexec_b64 s[16:17], s[2:3]
	s_cbranch_execz .LBB57_16
; %bb.8:                                ;   in Loop: Header=BB57_3 Depth=1
	s_mul_i32 s28, s38, s27
	s_mul_i32 s40, s26, s34
	v_add_u32_e32 v13, s28, v9
	s_mov_b64 s[28:29], 0
	v_mov_b32_e32 v14, v11
	v_mov_b32_e32 v15, v8
	s_branch .LBB57_10
.LBB57_9:                               ;   in Loop: Header=BB57_10 Depth=2
	v_add_u32_e32 v5, s7, v15
	v_mad_u64_u32 v[5:6], s[30:31], v5, s35, v[9:10]
	v_mov_b32_e32 v7, s23
	v_add_u32_e32 v15, 8, v15
	v_ashrrev_i32_e32 v6, 31, v5
	v_lshlrev_b64 v[5:6], 4, v[5:6]
	v_add_u32_e32 v14, s39, v14
	v_add_co_u32_e32 v20, vcc, s22, v5
	v_addc_co_u32_e32 v21, vcc, v7, v6, vcc
	global_load_dwordx4 v[16:19], v[20:21], off
	v_cmp_le_i32_e32 vcc, s34, v15
	s_or_b64 s[28:29], vcc, s[28:29]
	s_waitcnt vmcnt(0)
	v_add_f64 v[3:4], v[16:17], -v[3:4]
	v_add_f64 v[5:6], v[18:19], -v[1:2]
	global_store_dwordx4 v[20:21], v[3:6], off
	s_andn2_b64 exec, exec, s[28:29]
	s_cbranch_execz .LBB57_16
.LBB57_10:                              ;   Parent Loop BB57_3 Depth=1
                                        ; =>  This Loop Header: Depth=2
                                        ;       Child Loop BB57_12 Depth 3
	v_mov_b32_e32 v1, 0
	v_mov_b32_e32 v3, 0
	;; [unrolled: 1-line block ×3, first 2 shown]
	s_mov_b32 s41, 0
	v_mov_b32_e32 v4, 0
	v_mov_b32_e32 v5, v13
	s_branch .LBB57_12
.LBB57_11:                              ;   in Loop: Header=BB57_12 Depth=3
	v_ashrrev_i32_e32 v7, 31, v6
	v_lshlrev_b64 v[6:7], 4, v[6:7]
	v_mov_b32_e32 v16, s11
	v_add_co_u32_e32 v6, vcc, s10, v6
	v_addc_co_u32_e32 v7, vcc, v16, v7, vcc
	global_load_dwordx4 v[16:19], v[6:7], off
	v_ashrrev_i32_e32 v6, 31, v5
	v_lshlrev_b64 v[6:7], 4, v[5:6]
	v_mov_b32_e32 v20, s23
	v_add_co_u32_e32 v6, vcc, s22, v6
	v_addc_co_u32_e32 v7, vcc, v20, v7, vcc
	global_load_dwordx4 v[20:23], v[6:7], off
	s_add_i32 s41, s41, 1
	s_cmp_eq_u32 s34, s41
	v_add_u32_e32 v5, s35, v5
	s_waitcnt vmcnt(0)
	v_fma_f64 v[3:4], v[16:17], v[20:21], v[3:4]
	v_fma_f64 v[1:2], v[18:19], v[20:21], v[1:2]
	v_fma_f64 v[3:4], -v[18:19], v[22:23], v[3:4]
	v_fma_f64 v[1:2], v[16:17], v[22:23], v[1:2]
	s_cbranch_scc1 .LBB57_9
.LBB57_12:                              ;   Parent Loop BB57_3 Depth=1
                                        ;     Parent Loop BB57_10 Depth=2
                                        ; =>    This Inner Loop Header: Depth=3
	s_and_b64 vcc, exec, s[4:5]
	s_cbranch_vccz .LBB57_14
; %bb.13:                               ;   in Loop: Header=BB57_12 Depth=3
	s_add_i32 s30, s41, s40
	s_mul_i32 s30, s30, s34
	v_add_u32_e32 v6, s30, v15
	s_cbranch_execnz .LBB57_11
	s_branch .LBB57_15
.LBB57_14:                              ;   in Loop: Header=BB57_12 Depth=3
                                        ; implicit-def: $vgpr6
.LBB57_15:                              ;   in Loop: Header=BB57_12 Depth=3
	v_add_u32_e32 v6, s41, v14
	s_branch .LBB57_11
.LBB57_16:                              ;   in Loop: Header=BB57_3 Depth=1
	s_or_b64 exec, exec, s[16:17]
	s_add_i32 s26, s26, 1
	s_cmp_ge_i32 s26, s15
	v_add_u32_e32 v11, s37, v11
	s_cselect_b64 s[16:17], -1, 0
	s_and_b64 vcc, exec, s[16:17]
	s_cbranch_vccz .LBB57_3
	s_branch .LBB57_18
.LBB57_17:
	s_mov_b32 s27, s24
.LBB57_18:
	s_cmp_lt_i32 s6, s24
	s_cselect_b64 s[4:5], -1, 0
	s_cmp_eq_u32 s6, s27
	s_cselect_b64 s[0:1], -1, 0
	v_cmp_gt_i32_e32 vcc, s25, v9
	s_and_b64 s[0:1], vcc, s[0:1]
	s_cmp_gt_i32 s34, 0
	s_cselect_b64 s[2:3], -1, 0
	s_and_b64 s[0:1], s[0:1], s[2:3]
	s_mov_b32 s28, 0
	s_and_b64 s[2:3], s[0:1], s[4:5]
	s_mov_b64 s[0:1], 0
	s_and_saveexec_b64 s[16:17], s[2:3]
	s_cbranch_execz .LBB57_34
; %bb.19:
	v_add_u32_e32 v1, s7, v8
	v_mul_lo_u32 v1, s35, v1
	s_cmp_eq_u32 s13, 0
	s_cselect_b64 s[0:1], -1, 0
	s_cmp_lg_u32 s14, 0
	v_add_u32_e32 v1, s35, v1
	v_add3_u32 v13, v10, v1, s36
	v_cndmask_b32_e64 v1, 0, 1, s[0:1]
	s_cselect_b64 s[14:15], -1, 0
	v_add_u32_e32 v12, 1, v8
	s_mul_i32 s13, s26, s34
	s_lshl_b32 s29, s35, 3
	s_mul_i32 s30, s26, s37
	s_add_i32 s31, s34, 1
	s_mov_b64 s[18:19], 0
	v_cmp_ne_u32_e64 s[0:1], 1, v1
	v_mov_b32_e32 v14, 0
	v_mov_b32_e32 v15, s23
	s_branch .LBB57_21
.LBB57_20:                              ;   in Loop: Header=BB57_21 Depth=1
	s_or_b64 exec, exec, s[2:3]
	s_add_i32 s28, s28, 1
	s_add_i32 s30, s30, s31
	s_cmp_eq_u32 s28, s34
	v_add_u32_e32 v13, s35, v13
	s_cbranch_scc1 .LBB57_33
.LBB57_21:                              ; =>This Loop Header: Depth=1
                                        ;     Child Loop BB57_29 Depth 2
	s_and_b64 vcc, exec, s[0:1]
	s_cbranch_vccz .LBB57_23
; %bb.22:                               ;   in Loop: Header=BB57_21 Depth=1
	v_mov_b32_e32 v7, 0
	v_mov_b32_e32 v5, 0
	;; [unrolled: 1-line block ×4, first 2 shown]
	s_branch .LBB57_24
.LBB57_23:                              ;   in Loop: Header=BB57_21 Depth=1
	s_add_i32 s2, s28, s13
	s_mul_i32 s2, s2, s34
	s_add_i32 s2, s2, s28
	s_ashr_i32 s3, s2, 31
	s_lshl_b64 s[2:3], s[2:3], 4
	s_add_u32 s2, s10, s2
	s_addc_u32 s3, s11, s3
	global_load_dwordx4 v[5:8], v14, s[2:3]
.LBB57_24:                              ;   in Loop: Header=BB57_21 Depth=1
	s_add_i32 s2, s28, s7
	s_mul_i32 s2, s2, s35
	s_waitcnt vmcnt(0)
	v_add_u32_e32 v1, s2, v9
	v_ashrrev_i32_e32 v2, 31, v1
	v_lshlrev_b64 v[1:2], 4, v[1:2]
	s_waitcnt vmcnt(0)
	v_cmp_eq_f64_e64 s[2:3], 0, v[7:8]
	v_add_co_u32_e32 v10, vcc, s22, v1
	v_addc_co_u32_e32 v11, vcc, v15, v2, vcc
	global_load_dwordx4 v[1:4], v[10:11], off
	v_cmp_eq_f64_e32 vcc, 0, v[5:6]
	s_and_b64 s[2:3], vcc, s[2:3]
	s_and_b64 vcc, exec, s[2:3]
	s_cbranch_vccnz .LBB57_26
; %bb.25:                               ;   in Loop: Header=BB57_21 Depth=1
	v_mul_f64 v[16:17], v[7:8], v[7:8]
	v_fma_f64 v[16:17], v[5:6], v[5:6], v[16:17]
	v_div_scale_f64 v[18:19], s[2:3], v[16:17], v[16:17], 1.0
	v_rcp_f64_e32 v[20:21], v[18:19]
	v_fma_f64 v[22:23], -v[18:19], v[20:21], 1.0
	v_fma_f64 v[20:21], v[20:21], v[22:23], v[20:21]
	v_div_scale_f64 v[22:23], vcc, 1.0, v[16:17], 1.0
	v_fma_f64 v[24:25], -v[18:19], v[20:21], 1.0
	v_fma_f64 v[20:21], v[20:21], v[24:25], v[20:21]
	v_mul_f64 v[24:25], v[22:23], v[20:21]
	v_fma_f64 v[18:19], -v[18:19], v[24:25], v[22:23]
	v_div_fmas_f64 v[18:19], v[18:19], v[20:21], v[24:25]
	s_waitcnt vmcnt(0)
	v_mul_f64 v[20:21], v[7:8], v[3:4]
	v_mul_f64 v[7:8], v[7:8], -v[1:2]
	v_fma_f64 v[1:2], v[1:2], v[5:6], v[20:21]
	v_fma_f64 v[3:4], v[3:4], v[5:6], v[7:8]
	v_div_fixup_f64 v[16:17], v[18:19], v[16:17], 1.0
	v_mul_f64 v[1:2], v[16:17], v[1:2]
	v_mul_f64 v[3:4], v[16:17], v[3:4]
	global_store_dwordx4 v[10:11], v[1:4], off
	v_add_u32_e32 v8, s28, v12
	v_cmp_gt_i32_e32 vcc, s34, v8
	s_and_saveexec_b64 s[2:3], vcc
	s_cbranch_execz .LBB57_20
	s_branch .LBB57_27
.LBB57_26:                              ;   in Loop: Header=BB57_21 Depth=1
	s_mov_b64 s[18:19], -1
	v_add_u32_e32 v8, s28, v12
	v_cmp_gt_i32_e32 vcc, s34, v8
	s_and_saveexec_b64 s[2:3], vcc
	s_cbranch_execz .LBB57_20
.LBB57_27:                              ;   in Loop: Header=BB57_21 Depth=1
	s_mov_b64 s[24:25], 0
	v_mov_b32_e32 v5, v13
	v_mov_b32_e32 v10, v12
	s_branch .LBB57_29
.LBB57_28:                              ;   in Loop: Header=BB57_29 Depth=2
	v_ashrrev_i32_e32 v7, 31, v6
	v_lshlrev_b64 v[6:7], 4, v[6:7]
	v_mov_b32_e32 v11, s11
	v_add_co_u32_e32 v6, vcc, s10, v6
	v_addc_co_u32_e32 v7, vcc, v11, v7, vcc
	global_load_dwordx4 v[16:19], v[6:7], off
	v_ashrrev_i32_e32 v6, 31, v5
	v_lshlrev_b64 v[6:7], 4, v[5:6]
	v_mov_b32_e32 v11, s23
	v_add_co_u32_e32 v6, vcc, s22, v6
	v_addc_co_u32_e32 v7, vcc, v11, v7, vcc
	global_load_dwordx4 v[20:23], v[6:7], off
	v_add_u32_e32 v10, 8, v10
	v_add_u32_e32 v11, s28, v10
	v_cmp_le_i32_e32 vcc, s34, v11
	v_add_u32_e32 v8, 8, v8
	s_or_b64 s[24:25], vcc, s[24:25]
	v_add_u32_e32 v5, s29, v5
	s_waitcnt vmcnt(1)
	v_mul_f64 v[24:25], v[18:19], -v[3:4]
	v_mul_f64 v[18:19], v[1:2], v[18:19]
	v_fma_f64 v[24:25], v[1:2], v[16:17], v[24:25]
	v_fma_f64 v[18:19], v[3:4], v[16:17], v[18:19]
	s_waitcnt vmcnt(0)
	v_add_f64 v[16:17], v[20:21], -v[24:25]
	v_add_f64 v[18:19], v[22:23], -v[18:19]
	global_store_dwordx4 v[6:7], v[16:19], off
	s_andn2_b64 exec, exec, s[24:25]
	s_cbranch_execz .LBB57_20
.LBB57_29:                              ;   Parent Loop BB57_21 Depth=1
                                        ; =>  This Inner Loop Header: Depth=2
	s_and_b64 vcc, exec, s[14:15]
	s_cbranch_vccz .LBB57_31
; %bb.30:                               ;   in Loop: Header=BB57_29 Depth=2
	v_add_u32_e32 v6, s30, v10
	s_cbranch_execnz .LBB57_28
	s_branch .LBB57_32
.LBB57_31:                              ;   in Loop: Header=BB57_29 Depth=2
                                        ; implicit-def: $vgpr6
.LBB57_32:                              ;   in Loop: Header=BB57_29 Depth=2
	v_add_u32_e32 v6, s13, v8
	v_mul_lo_u32 v6, v6, s34
	v_add_u32_e32 v6, s28, v6
	s_branch .LBB57_28
.LBB57_33:
	s_and_b64 s[0:1], s[18:19], exec
.LBB57_34:
	s_or_b64 exec, exec, s[16:17]
	v_cmp_eq_u32_e32 vcc, 0, v0
	s_and_b64 s[2:3], vcc, s[4:5]
	s_waitcnt vmcnt(0)
	buffer_wbinvl1_vol
	s_barrier
	s_and_saveexec_b64 s[4:5], s[2:3]
	s_cbranch_execz .LBB57_38
; %bb.35:
	s_add_i32 s2, s6, s33
	s_ashr_i32 s3, s2, 31
	s_lshl_b64 s[2:3], s[2:3], 2
	s_add_u32 s2, s8, s2
	s_addc_u32 s3, s9, s3
	v_mov_b32_e32 v0, 0
	v_mov_b32_e32 v1, 1
	global_store_dword v0, v1, s[2:3]
	s_and_b64 exec, exec, s[0:1]
	s_cbranch_execz .LBB57_38
; %bb.36:
	v_mbcnt_lo_u32_b32 v0, exec_lo, 0
	v_mbcnt_hi_u32_b32 v0, exec_hi, v0
	v_cmp_eq_u32_e32 vcc, 0, v0
	s_and_b64 exec, exec, vcc
	s_cbranch_execz .LBB57_38
; %bb.37:
	s_add_i32 s0, s6, s12
	v_mov_b32_e32 v0, 0
	v_mov_b32_e32 v1, s0
	global_atomic_smin v0, v1, s[20:21]
.LBB57_38:
	s_endpgm
	.section	.rodata,"a",@progbits
	.p2align	6, 0x0
	.amdhsa_kernel _ZN9rocsparseL24bsrsm_lower_large_kernelILj128ELj16ELb0E21rocsparse_complex_numIdEEEviiPKiS4_PKT2_iPS5_iPiS4_S9_21rocsparse_index_base_20rocsparse_diag_type_20rocsparse_direction_
		.amdhsa_group_segment_fixed_size 0
		.amdhsa_private_segment_fixed_size 0
		.amdhsa_kernarg_size 92
		.amdhsa_user_sgpr_count 6
		.amdhsa_user_sgpr_private_segment_buffer 1
		.amdhsa_user_sgpr_dispatch_ptr 0
		.amdhsa_user_sgpr_queue_ptr 0
		.amdhsa_user_sgpr_kernarg_segment_ptr 1
		.amdhsa_user_sgpr_dispatch_id 0
		.amdhsa_user_sgpr_flat_scratch_init 0
		.amdhsa_user_sgpr_private_segment_size 0
		.amdhsa_uses_dynamic_stack 0
		.amdhsa_system_sgpr_private_segment_wavefront_offset 0
		.amdhsa_system_sgpr_workgroup_id_x 1
		.amdhsa_system_sgpr_workgroup_id_y 0
		.amdhsa_system_sgpr_workgroup_id_z 0
		.amdhsa_system_sgpr_workgroup_info 0
		.amdhsa_system_vgpr_workitem_id 0
		.amdhsa_next_free_vgpr 26
		.amdhsa_next_free_sgpr 42
		.amdhsa_reserve_vcc 1
		.amdhsa_reserve_flat_scratch 0
		.amdhsa_float_round_mode_32 0
		.amdhsa_float_round_mode_16_64 0
		.amdhsa_float_denorm_mode_32 3
		.amdhsa_float_denorm_mode_16_64 3
		.amdhsa_dx10_clamp 1
		.amdhsa_ieee_mode 1
		.amdhsa_fp16_overflow 0
		.amdhsa_exception_fp_ieee_invalid_op 0
		.amdhsa_exception_fp_denorm_src 0
		.amdhsa_exception_fp_ieee_div_zero 0
		.amdhsa_exception_fp_ieee_overflow 0
		.amdhsa_exception_fp_ieee_underflow 0
		.amdhsa_exception_fp_ieee_inexact 0
		.amdhsa_exception_int_div_zero 0
	.end_amdhsa_kernel
	.section	.text._ZN9rocsparseL24bsrsm_lower_large_kernelILj128ELj16ELb0E21rocsparse_complex_numIdEEEviiPKiS4_PKT2_iPS5_iPiS4_S9_21rocsparse_index_base_20rocsparse_diag_type_20rocsparse_direction_,"axG",@progbits,_ZN9rocsparseL24bsrsm_lower_large_kernelILj128ELj16ELb0E21rocsparse_complex_numIdEEEviiPKiS4_PKT2_iPS5_iPiS4_S9_21rocsparse_index_base_20rocsparse_diag_type_20rocsparse_direction_,comdat
.Lfunc_end57:
	.size	_ZN9rocsparseL24bsrsm_lower_large_kernelILj128ELj16ELb0E21rocsparse_complex_numIdEEEviiPKiS4_PKT2_iPS5_iPiS4_S9_21rocsparse_index_base_20rocsparse_diag_type_20rocsparse_direction_, .Lfunc_end57-_ZN9rocsparseL24bsrsm_lower_large_kernelILj128ELj16ELb0E21rocsparse_complex_numIdEEEviiPKiS4_PKT2_iPS5_iPiS4_S9_21rocsparse_index_base_20rocsparse_diag_type_20rocsparse_direction_
                                        ; -- End function
	.set _ZN9rocsparseL24bsrsm_lower_large_kernelILj128ELj16ELb0E21rocsparse_complex_numIdEEEviiPKiS4_PKT2_iPS5_iPiS4_S9_21rocsparse_index_base_20rocsparse_diag_type_20rocsparse_direction_.num_vgpr, 26
	.set _ZN9rocsparseL24bsrsm_lower_large_kernelILj128ELj16ELb0E21rocsparse_complex_numIdEEEviiPKiS4_PKT2_iPS5_iPiS4_S9_21rocsparse_index_base_20rocsparse_diag_type_20rocsparse_direction_.num_agpr, 0
	.set _ZN9rocsparseL24bsrsm_lower_large_kernelILj128ELj16ELb0E21rocsparse_complex_numIdEEEviiPKiS4_PKT2_iPS5_iPiS4_S9_21rocsparse_index_base_20rocsparse_diag_type_20rocsparse_direction_.numbered_sgpr, 42
	.set _ZN9rocsparseL24bsrsm_lower_large_kernelILj128ELj16ELb0E21rocsparse_complex_numIdEEEviiPKiS4_PKT2_iPS5_iPiS4_S9_21rocsparse_index_base_20rocsparse_diag_type_20rocsparse_direction_.num_named_barrier, 0
	.set _ZN9rocsparseL24bsrsm_lower_large_kernelILj128ELj16ELb0E21rocsparse_complex_numIdEEEviiPKiS4_PKT2_iPS5_iPiS4_S9_21rocsparse_index_base_20rocsparse_diag_type_20rocsparse_direction_.private_seg_size, 0
	.set _ZN9rocsparseL24bsrsm_lower_large_kernelILj128ELj16ELb0E21rocsparse_complex_numIdEEEviiPKiS4_PKT2_iPS5_iPiS4_S9_21rocsparse_index_base_20rocsparse_diag_type_20rocsparse_direction_.uses_vcc, 1
	.set _ZN9rocsparseL24bsrsm_lower_large_kernelILj128ELj16ELb0E21rocsparse_complex_numIdEEEviiPKiS4_PKT2_iPS5_iPiS4_S9_21rocsparse_index_base_20rocsparse_diag_type_20rocsparse_direction_.uses_flat_scratch, 0
	.set _ZN9rocsparseL24bsrsm_lower_large_kernelILj128ELj16ELb0E21rocsparse_complex_numIdEEEviiPKiS4_PKT2_iPS5_iPiS4_S9_21rocsparse_index_base_20rocsparse_diag_type_20rocsparse_direction_.has_dyn_sized_stack, 0
	.set _ZN9rocsparseL24bsrsm_lower_large_kernelILj128ELj16ELb0E21rocsparse_complex_numIdEEEviiPKiS4_PKT2_iPS5_iPiS4_S9_21rocsparse_index_base_20rocsparse_diag_type_20rocsparse_direction_.has_recursion, 0
	.set _ZN9rocsparseL24bsrsm_lower_large_kernelILj128ELj16ELb0E21rocsparse_complex_numIdEEEviiPKiS4_PKT2_iPS5_iPiS4_S9_21rocsparse_index_base_20rocsparse_diag_type_20rocsparse_direction_.has_indirect_call, 0
	.section	.AMDGPU.csdata,"",@progbits
; Kernel info:
; codeLenInByte = 1680
; TotalNumSgprs: 46
; NumVgprs: 26
; ScratchSize: 0
; MemoryBound: 0
; FloatMode: 240
; IeeeMode: 1
; LDSByteSize: 0 bytes/workgroup (compile time only)
; SGPRBlocks: 5
; VGPRBlocks: 6
; NumSGPRsForWavesPerEU: 46
; NumVGPRsForWavesPerEU: 26
; Occupancy: 9
; WaveLimiterHint : 1
; COMPUTE_PGM_RSRC2:SCRATCH_EN: 0
; COMPUTE_PGM_RSRC2:USER_SGPR: 6
; COMPUTE_PGM_RSRC2:TRAP_HANDLER: 0
; COMPUTE_PGM_RSRC2:TGID_X_EN: 1
; COMPUTE_PGM_RSRC2:TGID_Y_EN: 0
; COMPUTE_PGM_RSRC2:TGID_Z_EN: 0
; COMPUTE_PGM_RSRC2:TIDIG_COMP_CNT: 0
	.section	.text._ZN9rocsparseL24bsrsm_upper_large_kernelILj256ELj16ELb0E21rocsparse_complex_numIdEEEviiPKiS4_PKT2_iPS5_iPiS4_S9_21rocsparse_index_base_20rocsparse_diag_type_20rocsparse_direction_,"axG",@progbits,_ZN9rocsparseL24bsrsm_upper_large_kernelILj256ELj16ELb0E21rocsparse_complex_numIdEEEviiPKiS4_PKT2_iPS5_iPiS4_S9_21rocsparse_index_base_20rocsparse_diag_type_20rocsparse_direction_,comdat
	.globl	_ZN9rocsparseL24bsrsm_upper_large_kernelILj256ELj16ELb0E21rocsparse_complex_numIdEEEviiPKiS4_PKT2_iPS5_iPiS4_S9_21rocsparse_index_base_20rocsparse_diag_type_20rocsparse_direction_ ; -- Begin function _ZN9rocsparseL24bsrsm_upper_large_kernelILj256ELj16ELb0E21rocsparse_complex_numIdEEEviiPKiS4_PKT2_iPS5_iPiS4_S9_21rocsparse_index_base_20rocsparse_diag_type_20rocsparse_direction_
	.p2align	8
	.type	_ZN9rocsparseL24bsrsm_upper_large_kernelILj256ELj16ELb0E21rocsparse_complex_numIdEEEviiPKiS4_PKT2_iPS5_iPiS4_S9_21rocsparse_index_base_20rocsparse_diag_type_20rocsparse_direction_,@function
_ZN9rocsparseL24bsrsm_upper_large_kernelILj256ELj16ELb0E21rocsparse_complex_numIdEEEviiPKiS4_PKT2_iPS5_iPiS4_S9_21rocsparse_index_base_20rocsparse_diag_type_20rocsparse_direction_: ; @_ZN9rocsparseL24bsrsm_upper_large_kernelILj256ELj16ELb0E21rocsparse_complex_numIdEEEviiPKiS4_PKT2_iPS5_iPiS4_S9_21rocsparse_index_base_20rocsparse_diag_type_20rocsparse_direction_
; %bb.0:
	s_load_dwordx2 s[24:25], s[4:5], 0x0
	s_load_dwordx4 s[16:19], s[4:5], 0x8
	s_load_dwordx4 s[8:11], s[4:5], 0x38
	s_load_dwordx2 s[20:21], s[4:5], 0x48
	v_lshrrev_b32_e32 v8, 4, v0
	v_and_b32_e32 v12, 15, v0
	s_waitcnt lgkmcnt(0)
	v_cvt_f32_u32_e32 v1, s24
	s_sub_i32 s0, 0, s24
	v_rcp_iflag_f32_e32 v1, v1
	v_mul_f32_e32 v1, 0x4f7ffffe, v1
	v_cvt_u32_f32_e32 v1, v1
	v_readfirstlane_b32 s1, v1
	s_mul_i32 s0, s0, s1
	s_mul_hi_u32 s0, s1, s0
	s_add_i32 s1, s1, s0
	s_mul_hi_u32 s0, s6, s1
	s_mul_i32 s1, s0, s24
	s_sub_i32 s1, s6, s1
	s_add_i32 s2, s0, 1
	s_sub_i32 s3, s1, s24
	s_cmp_ge_u32 s1, s24
	s_cselect_b32 s0, s2, s0
	s_cselect_b32 s1, s3, s1
	s_add_i32 s2, s0, 1
	s_cmp_ge_u32 s1, s24
	s_cselect_b32 s26, s2, s0
	s_mul_i32 s33, s26, s24
	s_sub_i32 s0, s6, s33
	s_ashr_i32 s1, s0, 31
	s_lshl_b64 s[0:1], s[0:1], 2
	s_add_u32 s0, s10, s0
	s_addc_u32 s1, s11, s1
	s_load_dword s6, s[0:1], 0x0
	s_load_dwordx2 s[10:11], s[4:5], 0x18
	s_load_dword s34, s[4:5], 0x20
	s_load_dwordx2 s[22:23], s[4:5], 0x28
	s_load_dword s35, s[4:5], 0x30
	s_load_dwordx4 s[12:15], s[4:5], 0x50
	s_waitcnt lgkmcnt(0)
	s_ashr_i32 s7, s6, 31
	s_lshl_b64 s[0:1], s[6:7], 2
	s_add_u32 s0, s16, s0
	s_addc_u32 s1, s17, s1
	s_load_dwordx2 s[2:3], s[0:1], 0x0
	s_lshl_b32 s36, s26, 4
	s_not_b32 s0, s12
	v_or_b32_e32 v9, s36, v8
	v_cmp_gt_i32_e32 vcc, s25, v9
	s_waitcnt lgkmcnt(0)
	s_sub_i32 s15, s2, s12
	s_add_i32 s16, s3, s0
	s_cmp_lt_i32 s16, s15
	s_mul_i32 s7, s6, s34
	v_cmp_eq_u32_e64 s[0:1], 0, v0
	s_cbranch_scc1 .LBB58_17
; %bb.1:
	s_mul_i32 s17, s34, s16
	v_add_u32_e32 v1, s17, v12
	v_mul_lo_u32 v10, s34, v1
	v_cmp_gt_i32_e64 s[2:3], s34, v12
	s_cmp_lg_u32 s14, 0
	s_cselect_b64 s[4:5], -1, 0
	s_and_b64 s[2:3], vcc, s[2:3]
	s_mul_i32 s37, s35, s34
	s_mul_i32 s38, s34, s34
	s_lshl_b32 s39, s34, 4
	v_mov_b32_e32 v11, 0
	s_branch .LBB58_3
.LBB58_2:                               ;   in Loop: Header=BB58_3 Depth=1
                                        ; implicit-def: $vgpr10
	s_and_b64 vcc, exec, s[26:27]
	s_cbranch_vccnz .LBB58_18
.LBB58_3:                               ; =>This Loop Header: Depth=1
                                        ;     Child Loop BB58_6 Depth 2
                                        ;     Child Loop BB58_10 Depth 2
                                        ;       Child Loop BB58_12 Depth 3
	s_ashr_i32 s17, s16, 31
	s_lshl_b64 s[26:27], s[16:17], 2
	s_add_u32 s26, s18, s26
	s_addc_u32 s27, s19, s27
	global_load_dword v1, v11, s[26:27]
	s_mov_b64 s[26:27], -1
	s_waitcnt vmcnt(0)
	v_readfirstlane_b32 s17, v1
	s_sub_i32 s17, s17, s12
	s_cmp_le_i32 s17, s6
	s_cbranch_scc1 .LBB58_2
; %bb.4:                                ;   in Loop: Header=BB58_3 Depth=1
	s_and_saveexec_b64 s[26:27], s[0:1]
	s_cbranch_execz .LBB58_7
; %bb.5:                                ;   in Loop: Header=BB58_3 Depth=1
	s_add_i32 s28, s17, s33
	s_ashr_i32 s29, s28, 31
	s_lshl_b64 s[28:29], s[28:29], 2
	s_add_u32 s28, s8, s28
	s_addc_u32 s29, s9, s29
	global_load_dword v1, v11, s[28:29] glc
	s_waitcnt vmcnt(0)
	v_cmp_ne_u32_e32 vcc, 0, v1
	s_cbranch_vccnz .LBB58_7
.LBB58_6:                               ;   Parent Loop BB58_3 Depth=1
                                        ; =>  This Inner Loop Header: Depth=2
	global_load_dword v1, v11, s[28:29] glc
	s_waitcnt vmcnt(0)
	v_cmp_eq_u32_e32 vcc, 0, v1
	s_cbranch_vccnz .LBB58_6
.LBB58_7:                               ;   in Loop: Header=BB58_3 Depth=1
	s_or_b64 exec, exec, s[26:27]
	buffer_wbinvl1_vol
	s_barrier
	s_and_saveexec_b64 s[26:27], s[2:3]
	s_cbranch_execz .LBB58_16
; %bb.8:                                ;   in Loop: Header=BB58_3 Depth=1
	s_mul_i32 s28, s37, s17
	s_mul_i32 s40, s16, s34
	v_add_u32_e32 v13, s28, v9
	s_mov_b64 s[28:29], 0
	v_mov_b32_e32 v14, v10
	v_mov_b32_e32 v15, v12
	s_branch .LBB58_10
.LBB58_9:                               ;   in Loop: Header=BB58_10 Depth=2
	v_add_u32_e32 v5, s7, v15
	v_mad_u64_u32 v[5:6], s[30:31], v5, s35, v[9:10]
	v_mov_b32_e32 v7, s23
	v_add_u32_e32 v15, 16, v15
	v_ashrrev_i32_e32 v6, 31, v5
	v_lshlrev_b64 v[5:6], 4, v[5:6]
	v_add_u32_e32 v14, s39, v14
	v_add_co_u32_e32 v20, vcc, s22, v5
	v_addc_co_u32_e32 v21, vcc, v7, v6, vcc
	global_load_dwordx4 v[16:19], v[20:21], off
	v_cmp_le_i32_e32 vcc, s34, v15
	s_or_b64 s[28:29], vcc, s[28:29]
	s_waitcnt vmcnt(0)
	v_add_f64 v[3:4], v[16:17], -v[3:4]
	v_add_f64 v[5:6], v[18:19], -v[1:2]
	global_store_dwordx4 v[20:21], v[3:6], off
	s_andn2_b64 exec, exec, s[28:29]
	s_cbranch_execz .LBB58_16
.LBB58_10:                              ;   Parent Loop BB58_3 Depth=1
                                        ; =>  This Loop Header: Depth=2
                                        ;       Child Loop BB58_12 Depth 3
	v_mov_b32_e32 v1, 0
	v_mov_b32_e32 v3, 0
	;; [unrolled: 1-line block ×3, first 2 shown]
	s_mov_b32 s41, 0
	v_mov_b32_e32 v4, 0
	v_mov_b32_e32 v5, v13
	s_branch .LBB58_12
.LBB58_11:                              ;   in Loop: Header=BB58_12 Depth=3
	v_ashrrev_i32_e32 v7, 31, v6
	v_lshlrev_b64 v[6:7], 4, v[6:7]
	v_mov_b32_e32 v16, s11
	v_add_co_u32_e32 v6, vcc, s10, v6
	v_addc_co_u32_e32 v7, vcc, v16, v7, vcc
	global_load_dwordx4 v[16:19], v[6:7], off
	v_ashrrev_i32_e32 v6, 31, v5
	v_lshlrev_b64 v[6:7], 4, v[5:6]
	v_mov_b32_e32 v20, s23
	v_add_co_u32_e32 v6, vcc, s22, v6
	v_addc_co_u32_e32 v7, vcc, v20, v7, vcc
	global_load_dwordx4 v[20:23], v[6:7], off
	s_add_i32 s41, s41, 1
	s_cmp_eq_u32 s34, s41
	v_add_u32_e32 v5, s35, v5
	s_waitcnt vmcnt(0)
	v_fma_f64 v[3:4], v[16:17], v[20:21], v[3:4]
	v_fma_f64 v[1:2], v[18:19], v[20:21], v[1:2]
	v_fma_f64 v[3:4], -v[18:19], v[22:23], v[3:4]
	v_fma_f64 v[1:2], v[16:17], v[22:23], v[1:2]
	s_cbranch_scc1 .LBB58_9
.LBB58_12:                              ;   Parent Loop BB58_3 Depth=1
                                        ;     Parent Loop BB58_10 Depth=2
                                        ; =>    This Inner Loop Header: Depth=3
	s_and_b64 vcc, exec, s[4:5]
	s_cbranch_vccz .LBB58_14
; %bb.13:                               ;   in Loop: Header=BB58_12 Depth=3
	s_add_i32 s30, s41, s40
	s_mul_i32 s30, s30, s34
	v_add_u32_e32 v6, s30, v15
	s_cbranch_execnz .LBB58_11
	s_branch .LBB58_15
.LBB58_14:                              ;   in Loop: Header=BB58_12 Depth=3
                                        ; implicit-def: $vgpr6
.LBB58_15:                              ;   in Loop: Header=BB58_12 Depth=3
	v_add_u32_e32 v6, s41, v14
	s_branch .LBB58_11
.LBB58_16:                              ;   in Loop: Header=BB58_3 Depth=1
	s_or_b64 exec, exec, s[26:27]
	s_add_i32 s28, s16, -1
	s_cmp_le_i32 s16, s15
	v_subrev_u32_e32 v10, s38, v10
	s_cselect_b64 s[26:27], -1, 0
	s_mov_b32 s16, s28
	s_and_b64 vcc, exec, s[26:27]
	s_cbranch_vccz .LBB58_3
	s_branch .LBB58_18
.LBB58_17:
	s_mov_b32 s17, s24
.LBB58_18:
	s_cmp_lt_i32 s6, s24
	s_cselect_b64 s[4:5], -1, 0
	s_cmp_eq_u32 s6, s17
	s_cselect_b64 s[0:1], -1, 0
	v_cmp_gt_i32_e32 vcc, s25, v9
	s_and_b64 s[0:1], vcc, s[0:1]
	s_cmp_gt_i32 s34, 0
	s_cselect_b64 s[2:3], -1, 0
	s_and_b64 s[0:1], s[0:1], s[2:3]
	s_and_b64 s[2:3], s[0:1], s[4:5]
	s_mov_b64 s[0:1], 0
	s_and_saveexec_b64 s[18:19], s[2:3]
	s_cbranch_execz .LBB58_35
; %bb.19:
	v_add_u32_e32 v1, s7, v12
	s_cmp_eq_u32 s13, 0
	v_mul_lo_u32 v1, s35, v1
	s_cselect_b64 s[0:1], -1, 0
	s_cmp_lg_u32 s14, 0
	s_cselect_b64 s[14:15], -1, 0
	s_add_i32 s2, s16, 1
	s_mul_i32 s2, s34, s2
	v_add3_u32 v13, v8, v1, s36
	s_add_i32 s2, s2, -1
	v_cndmask_b32_e64 v1, 0, 1, s[0:1]
	s_mul_i32 s13, s16, s34
	s_lshl_b32 s28, s35, 4
	s_mul_i32 s29, s34, s2
	s_mov_b64 s[16:17], 0
	v_cmp_ne_u32_e64 s[0:1], 1, v1
	v_mov_b32_e32 v14, 0
	v_mov_b32_e32 v15, s23
	s_mov_b32 s30, s34
	s_and_b64 vcc, exec, s[0:1]
	s_add_i32 s31, s30, -1
	s_cbranch_vccz .LBB58_21
.LBB58_20:
	v_mov_b32_e32 v7, 0
	v_mov_b32_e32 v5, 0
	;; [unrolled: 1-line block ×4, first 2 shown]
	s_branch .LBB58_22
.LBB58_21:
	s_add_i32 s2, s31, s13
	s_mul_i32 s2, s2, s34
	s_add_i32 s2, s2, s31
	s_ashr_i32 s3, s2, 31
	s_lshl_b64 s[2:3], s[2:3], 4
	s_add_u32 s2, s10, s2
	s_addc_u32 s3, s11, s3
	global_load_dwordx4 v[5:8], v14, s[2:3]
.LBB58_22:
	s_add_i32 s2, s31, s7
	s_mul_i32 s2, s2, s35
	s_waitcnt vmcnt(0)
	v_add_u32_e32 v1, s2, v9
	v_ashrrev_i32_e32 v2, 31, v1
	v_lshlrev_b64 v[1:2], 4, v[1:2]
	s_waitcnt vmcnt(0)
	v_cmp_eq_f64_e64 s[2:3], 0, v[7:8]
	v_add_co_u32_e32 v10, vcc, s22, v1
	v_addc_co_u32_e32 v11, vcc, v15, v2, vcc
	global_load_dwordx4 v[1:4], v[10:11], off
	v_cmp_eq_f64_e32 vcc, 0, v[5:6]
	s_and_b64 s[2:3], vcc, s[2:3]
	s_and_b64 vcc, exec, s[2:3]
	s_cbranch_vccnz .LBB58_24
; %bb.23:
	s_waitcnt vmcnt(0)
	v_mul_f64 v[16:17], v[7:8], v[3:4]
	v_fma_f64 v[16:17], v[1:2], v[5:6], v[16:17]
	v_mul_f64 v[1:2], v[7:8], -v[1:2]
	v_fma_f64 v[3:4], v[3:4], v[5:6], v[1:2]
	v_mul_f64 v[1:2], v[7:8], v[7:8]
	v_fma_f64 v[1:2], v[5:6], v[5:6], v[1:2]
	v_div_scale_f64 v[5:6], s[2:3], v[1:2], v[1:2], 1.0
	v_rcp_f64_e32 v[7:8], v[5:6]
	v_fma_f64 v[18:19], -v[5:6], v[7:8], 1.0
	v_fma_f64 v[7:8], v[7:8], v[18:19], v[7:8]
	v_fma_f64 v[18:19], -v[5:6], v[7:8], 1.0
	v_fma_f64 v[7:8], v[7:8], v[18:19], v[7:8]
	v_div_scale_f64 v[18:19], vcc, 1.0, v[1:2], 1.0
	v_mul_f64 v[20:21], v[18:19], v[7:8]
	v_fma_f64 v[5:6], -v[5:6], v[20:21], v[18:19]
	s_nop 1
	v_div_fmas_f64 v[5:6], v[5:6], v[7:8], v[20:21]
	v_div_fixup_f64 v[5:6], v[5:6], v[1:2], 1.0
	v_mul_f64 v[1:2], v[5:6], v[16:17]
	v_mul_f64 v[3:4], v[5:6], v[3:4]
	global_store_dwordx4 v[10:11], v[1:4], off
	v_cmp_gt_i32_e32 vcc, s31, v12
	s_and_saveexec_b64 s[2:3], vcc
	s_cbranch_execnz .LBB58_25
	s_branch .LBB58_31
.LBB58_24:
	s_mov_b64 s[16:17], -1
	v_cmp_gt_i32_e32 vcc, s31, v12
	s_and_saveexec_b64 s[2:3], vcc
	s_cbranch_execz .LBB58_31
.LBB58_25:
	s_mov_b64 s[24:25], 0
	v_mov_b32_e32 v5, v13
	v_mov_b32_e32 v8, v12
	s_branch .LBB58_27
.LBB58_26:                              ;   in Loop: Header=BB58_27 Depth=1
	v_ashrrev_i32_e32 v7, 31, v6
	v_lshlrev_b64 v[6:7], 4, v[6:7]
	v_mov_b32_e32 v10, s11
	v_add_co_u32_e32 v6, vcc, s10, v6
	v_addc_co_u32_e32 v7, vcc, v10, v7, vcc
	global_load_dwordx4 v[16:19], v[6:7], off
	v_add_u32_e32 v8, 16, v8
	s_waitcnt vmcnt(0)
	v_mul_f64 v[6:7], v[18:19], -v[3:4]
	v_fma_f64 v[10:11], v[1:2], v[16:17], v[6:7]
	v_mul_f64 v[6:7], v[1:2], v[18:19]
	v_fma_f64 v[20:21], v[3:4], v[16:17], v[6:7]
	v_ashrrev_i32_e32 v6, 31, v5
	v_lshlrev_b64 v[6:7], 4, v[5:6]
	v_mov_b32_e32 v16, s23
	v_add_co_u32_e32 v6, vcc, s22, v6
	v_addc_co_u32_e32 v7, vcc, v16, v7, vcc
	global_load_dwordx4 v[16:19], v[6:7], off
	v_cmp_le_i32_e32 vcc, s31, v8
	s_or_b64 s[24:25], vcc, s[24:25]
	v_add_u32_e32 v5, s28, v5
	s_waitcnt vmcnt(0)
	v_add_f64 v[16:17], v[16:17], -v[10:11]
	v_add_f64 v[18:19], v[18:19], -v[20:21]
	global_store_dwordx4 v[6:7], v[16:19], off
	s_andn2_b64 exec, exec, s[24:25]
	s_cbranch_execz .LBB58_31
.LBB58_27:                              ; =>This Inner Loop Header: Depth=1
	s_and_b64 vcc, exec, s[14:15]
	s_cbranch_vccz .LBB58_29
; %bb.28:                               ;   in Loop: Header=BB58_27 Depth=1
	v_add_u32_e32 v6, s29, v8
	s_cbranch_execnz .LBB58_26
	s_branch .LBB58_30
.LBB58_29:                              ;   in Loop: Header=BB58_27 Depth=1
                                        ; implicit-def: $vgpr6
.LBB58_30:                              ;   in Loop: Header=BB58_27 Depth=1
	v_add_u32_e32 v6, s13, v8
	v_mul_lo_u32 v6, v6, s34
	v_add_u32_e32 v6, s31, v6
	s_branch .LBB58_26
.LBB58_31:
	s_or_b64 exec, exec, s[2:3]
; %bb.32:
	s_sub_i32 s29, s29, s34
	s_cmp_lt_i32 s30, 2
	s_cbranch_scc1 .LBB58_34
; %bb.33:
	s_mov_b32 s30, s31
	s_and_b64 vcc, exec, s[0:1]
	s_add_i32 s31, s30, -1
	s_cbranch_vccnz .LBB58_20
	s_branch .LBB58_21
.LBB58_34:
	s_and_b64 s[0:1], s[16:17], exec
.LBB58_35:
	s_or_b64 exec, exec, s[18:19]
	v_cmp_eq_u32_e32 vcc, 0, v0
	s_and_b64 s[2:3], vcc, s[4:5]
	s_waitcnt vmcnt(0)
	buffer_wbinvl1_vol
	s_barrier
	s_and_saveexec_b64 s[4:5], s[2:3]
	s_cbranch_execz .LBB58_39
; %bb.36:
	s_add_i32 s2, s6, s33
	s_ashr_i32 s3, s2, 31
	s_lshl_b64 s[2:3], s[2:3], 2
	s_add_u32 s2, s8, s2
	s_addc_u32 s3, s9, s3
	v_mov_b32_e32 v0, 0
	v_mov_b32_e32 v1, 1
	global_store_dword v0, v1, s[2:3]
	s_and_b64 exec, exec, s[0:1]
	s_cbranch_execz .LBB58_39
; %bb.37:
	v_mbcnt_lo_u32_b32 v0, exec_lo, 0
	v_mbcnt_hi_u32_b32 v0, exec_hi, v0
	v_cmp_eq_u32_e32 vcc, 0, v0
	s_and_b64 exec, exec, vcc
	s_cbranch_execz .LBB58_39
; %bb.38:
	s_add_i32 s0, s6, s12
	v_mov_b32_e32 v0, 0
	v_mov_b32_e32 v1, s0
	global_atomic_smin v0, v1, s[20:21]
.LBB58_39:
	s_endpgm
	.section	.rodata,"a",@progbits
	.p2align	6, 0x0
	.amdhsa_kernel _ZN9rocsparseL24bsrsm_upper_large_kernelILj256ELj16ELb0E21rocsparse_complex_numIdEEEviiPKiS4_PKT2_iPS5_iPiS4_S9_21rocsparse_index_base_20rocsparse_diag_type_20rocsparse_direction_
		.amdhsa_group_segment_fixed_size 0
		.amdhsa_private_segment_fixed_size 0
		.amdhsa_kernarg_size 92
		.amdhsa_user_sgpr_count 6
		.amdhsa_user_sgpr_private_segment_buffer 1
		.amdhsa_user_sgpr_dispatch_ptr 0
		.amdhsa_user_sgpr_queue_ptr 0
		.amdhsa_user_sgpr_kernarg_segment_ptr 1
		.amdhsa_user_sgpr_dispatch_id 0
		.amdhsa_user_sgpr_flat_scratch_init 0
		.amdhsa_user_sgpr_private_segment_size 0
		.amdhsa_uses_dynamic_stack 0
		.amdhsa_system_sgpr_private_segment_wavefront_offset 0
		.amdhsa_system_sgpr_workgroup_id_x 1
		.amdhsa_system_sgpr_workgroup_id_y 0
		.amdhsa_system_sgpr_workgroup_id_z 0
		.amdhsa_system_sgpr_workgroup_info 0
		.amdhsa_system_vgpr_workitem_id 0
		.amdhsa_next_free_vgpr 24
		.amdhsa_next_free_sgpr 42
		.amdhsa_reserve_vcc 1
		.amdhsa_reserve_flat_scratch 0
		.amdhsa_float_round_mode_32 0
		.amdhsa_float_round_mode_16_64 0
		.amdhsa_float_denorm_mode_32 3
		.amdhsa_float_denorm_mode_16_64 3
		.amdhsa_dx10_clamp 1
		.amdhsa_ieee_mode 1
		.amdhsa_fp16_overflow 0
		.amdhsa_exception_fp_ieee_invalid_op 0
		.amdhsa_exception_fp_denorm_src 0
		.amdhsa_exception_fp_ieee_div_zero 0
		.amdhsa_exception_fp_ieee_overflow 0
		.amdhsa_exception_fp_ieee_underflow 0
		.amdhsa_exception_fp_ieee_inexact 0
		.amdhsa_exception_int_div_zero 0
	.end_amdhsa_kernel
	.section	.text._ZN9rocsparseL24bsrsm_upper_large_kernelILj256ELj16ELb0E21rocsparse_complex_numIdEEEviiPKiS4_PKT2_iPS5_iPiS4_S9_21rocsparse_index_base_20rocsparse_diag_type_20rocsparse_direction_,"axG",@progbits,_ZN9rocsparseL24bsrsm_upper_large_kernelILj256ELj16ELb0E21rocsparse_complex_numIdEEEviiPKiS4_PKT2_iPS5_iPiS4_S9_21rocsparse_index_base_20rocsparse_diag_type_20rocsparse_direction_,comdat
.Lfunc_end58:
	.size	_ZN9rocsparseL24bsrsm_upper_large_kernelILj256ELj16ELb0E21rocsparse_complex_numIdEEEviiPKiS4_PKT2_iPS5_iPiS4_S9_21rocsparse_index_base_20rocsparse_diag_type_20rocsparse_direction_, .Lfunc_end58-_ZN9rocsparseL24bsrsm_upper_large_kernelILj256ELj16ELb0E21rocsparse_complex_numIdEEEviiPKiS4_PKT2_iPS5_iPiS4_S9_21rocsparse_index_base_20rocsparse_diag_type_20rocsparse_direction_
                                        ; -- End function
	.set _ZN9rocsparseL24bsrsm_upper_large_kernelILj256ELj16ELb0E21rocsparse_complex_numIdEEEviiPKiS4_PKT2_iPS5_iPiS4_S9_21rocsparse_index_base_20rocsparse_diag_type_20rocsparse_direction_.num_vgpr, 24
	.set _ZN9rocsparseL24bsrsm_upper_large_kernelILj256ELj16ELb0E21rocsparse_complex_numIdEEEviiPKiS4_PKT2_iPS5_iPiS4_S9_21rocsparse_index_base_20rocsparse_diag_type_20rocsparse_direction_.num_agpr, 0
	.set _ZN9rocsparseL24bsrsm_upper_large_kernelILj256ELj16ELb0E21rocsparse_complex_numIdEEEviiPKiS4_PKT2_iPS5_iPiS4_S9_21rocsparse_index_base_20rocsparse_diag_type_20rocsparse_direction_.numbered_sgpr, 42
	.set _ZN9rocsparseL24bsrsm_upper_large_kernelILj256ELj16ELb0E21rocsparse_complex_numIdEEEviiPKiS4_PKT2_iPS5_iPiS4_S9_21rocsparse_index_base_20rocsparse_diag_type_20rocsparse_direction_.num_named_barrier, 0
	.set _ZN9rocsparseL24bsrsm_upper_large_kernelILj256ELj16ELb0E21rocsparse_complex_numIdEEEviiPKiS4_PKT2_iPS5_iPiS4_S9_21rocsparse_index_base_20rocsparse_diag_type_20rocsparse_direction_.private_seg_size, 0
	.set _ZN9rocsparseL24bsrsm_upper_large_kernelILj256ELj16ELb0E21rocsparse_complex_numIdEEEviiPKiS4_PKT2_iPS5_iPiS4_S9_21rocsparse_index_base_20rocsparse_diag_type_20rocsparse_direction_.uses_vcc, 1
	.set _ZN9rocsparseL24bsrsm_upper_large_kernelILj256ELj16ELb0E21rocsparse_complex_numIdEEEviiPKiS4_PKT2_iPS5_iPiS4_S9_21rocsparse_index_base_20rocsparse_diag_type_20rocsparse_direction_.uses_flat_scratch, 0
	.set _ZN9rocsparseL24bsrsm_upper_large_kernelILj256ELj16ELb0E21rocsparse_complex_numIdEEEviiPKiS4_PKT2_iPS5_iPiS4_S9_21rocsparse_index_base_20rocsparse_diag_type_20rocsparse_direction_.has_dyn_sized_stack, 0
	.set _ZN9rocsparseL24bsrsm_upper_large_kernelILj256ELj16ELb0E21rocsparse_complex_numIdEEEviiPKiS4_PKT2_iPS5_iPiS4_S9_21rocsparse_index_base_20rocsparse_diag_type_20rocsparse_direction_.has_recursion, 0
	.set _ZN9rocsparseL24bsrsm_upper_large_kernelILj256ELj16ELb0E21rocsparse_complex_numIdEEEviiPKiS4_PKT2_iPS5_iPiS4_S9_21rocsparse_index_base_20rocsparse_diag_type_20rocsparse_direction_.has_indirect_call, 0
	.section	.AMDGPU.csdata,"",@progbits
; Kernel info:
; codeLenInByte = 1688
; TotalNumSgprs: 46
; NumVgprs: 24
; ScratchSize: 0
; MemoryBound: 0
; FloatMode: 240
; IeeeMode: 1
; LDSByteSize: 0 bytes/workgroup (compile time only)
; SGPRBlocks: 5
; VGPRBlocks: 5
; NumSGPRsForWavesPerEU: 46
; NumVGPRsForWavesPerEU: 24
; Occupancy: 10
; WaveLimiterHint : 1
; COMPUTE_PGM_RSRC2:SCRATCH_EN: 0
; COMPUTE_PGM_RSRC2:USER_SGPR: 6
; COMPUTE_PGM_RSRC2:TRAP_HANDLER: 0
; COMPUTE_PGM_RSRC2:TGID_X_EN: 1
; COMPUTE_PGM_RSRC2:TGID_Y_EN: 0
; COMPUTE_PGM_RSRC2:TGID_Z_EN: 0
; COMPUTE_PGM_RSRC2:TIDIG_COMP_CNT: 0
	.section	.text._ZN9rocsparseL24bsrsm_lower_large_kernelILj256ELj16ELb0E21rocsparse_complex_numIdEEEviiPKiS4_PKT2_iPS5_iPiS4_S9_21rocsparse_index_base_20rocsparse_diag_type_20rocsparse_direction_,"axG",@progbits,_ZN9rocsparseL24bsrsm_lower_large_kernelILj256ELj16ELb0E21rocsparse_complex_numIdEEEviiPKiS4_PKT2_iPS5_iPiS4_S9_21rocsparse_index_base_20rocsparse_diag_type_20rocsparse_direction_,comdat
	.globl	_ZN9rocsparseL24bsrsm_lower_large_kernelILj256ELj16ELb0E21rocsparse_complex_numIdEEEviiPKiS4_PKT2_iPS5_iPiS4_S9_21rocsparse_index_base_20rocsparse_diag_type_20rocsparse_direction_ ; -- Begin function _ZN9rocsparseL24bsrsm_lower_large_kernelILj256ELj16ELb0E21rocsparse_complex_numIdEEEviiPKiS4_PKT2_iPS5_iPiS4_S9_21rocsparse_index_base_20rocsparse_diag_type_20rocsparse_direction_
	.p2align	8
	.type	_ZN9rocsparseL24bsrsm_lower_large_kernelILj256ELj16ELb0E21rocsparse_complex_numIdEEEviiPKiS4_PKT2_iPS5_iPiS4_S9_21rocsparse_index_base_20rocsparse_diag_type_20rocsparse_direction_,@function
_ZN9rocsparseL24bsrsm_lower_large_kernelILj256ELj16ELb0E21rocsparse_complex_numIdEEEviiPKiS4_PKT2_iPS5_iPiS4_S9_21rocsparse_index_base_20rocsparse_diag_type_20rocsparse_direction_: ; @_ZN9rocsparseL24bsrsm_lower_large_kernelILj256ELj16ELb0E21rocsparse_complex_numIdEEEviiPKiS4_PKT2_iPS5_iPiS4_S9_21rocsparse_index_base_20rocsparse_diag_type_20rocsparse_direction_
; %bb.0:
	s_load_dwordx2 s[24:25], s[4:5], 0x0
	s_load_dwordx4 s[16:19], s[4:5], 0x8
	s_load_dwordx4 s[8:11], s[4:5], 0x38
	s_load_dwordx2 s[20:21], s[4:5], 0x48
	v_lshrrev_b32_e32 v10, 4, v0
	v_and_b32_e32 v8, 15, v0
	s_waitcnt lgkmcnt(0)
	v_cvt_f32_u32_e32 v1, s24
	s_sub_i32 s0, 0, s24
	v_rcp_iflag_f32_e32 v1, v1
	v_mul_f32_e32 v1, 0x4f7ffffe, v1
	v_cvt_u32_f32_e32 v1, v1
	v_readfirstlane_b32 s1, v1
	s_mul_i32 s0, s0, s1
	s_mul_hi_u32 s0, s1, s0
	s_add_i32 s1, s1, s0
	s_mul_hi_u32 s0, s6, s1
	s_mul_i32 s1, s0, s24
	s_sub_i32 s1, s6, s1
	s_add_i32 s2, s0, 1
	s_sub_i32 s3, s1, s24
	s_cmp_ge_u32 s1, s24
	s_cselect_b32 s0, s2, s0
	s_cselect_b32 s1, s3, s1
	s_add_i32 s2, s0, 1
	s_cmp_ge_u32 s1, s24
	s_cselect_b32 s26, s2, s0
	s_mul_i32 s33, s26, s24
	s_sub_i32 s0, s6, s33
	s_ashr_i32 s1, s0, 31
	s_lshl_b64 s[0:1], s[0:1], 2
	s_add_u32 s0, s10, s0
	s_addc_u32 s1, s11, s1
	s_load_dword s6, s[0:1], 0x0
	s_load_dwordx2 s[10:11], s[4:5], 0x18
	s_load_dword s34, s[4:5], 0x20
	s_load_dwordx2 s[22:23], s[4:5], 0x28
	s_load_dword s35, s[4:5], 0x30
	s_load_dwordx4 s[12:15], s[4:5], 0x50
	s_waitcnt lgkmcnt(0)
	s_ashr_i32 s7, s6, 31
	s_lshl_b64 s[0:1], s[6:7], 2
	s_add_u32 s0, s16, s0
	s_addc_u32 s1, s17, s1
	s_load_dwordx2 s[2:3], s[0:1], 0x0
	s_lshl_b32 s36, s26, 4
	v_or_b32_e32 v9, s36, v10
	s_mul_i32 s7, s6, s34
	v_cmp_gt_i32_e32 vcc, s25, v9
	s_waitcnt lgkmcnt(0)
	s_sub_i32 s26, s2, s12
	s_cmp_ge_i32 s2, s3
	s_mul_i32 s37, s34, s34
	v_cmp_eq_u32_e64 s[0:1], 0, v0
	s_cbranch_scc1 .LBB59_17
; %bb.1:
	s_mul_i32 s16, s34, s26
	v_add_u32_e32 v1, s16, v8
	v_mul_lo_u32 v11, s34, v1
	s_sub_i32 s15, s3, s12
	v_cmp_gt_i32_e64 s[2:3], s34, v8
	s_cmp_lg_u32 s14, 0
	s_cselect_b64 s[4:5], -1, 0
	s_and_b64 s[2:3], vcc, s[2:3]
	s_mul_i32 s38, s35, s34
	s_lshl_b32 s39, s34, 4
	v_mov_b32_e32 v12, 0
	s_branch .LBB59_3
.LBB59_2:                               ;   in Loop: Header=BB59_3 Depth=1
                                        ; implicit-def: $vgpr11
	s_and_b64 vcc, exec, s[16:17]
	s_cbranch_vccnz .LBB59_18
.LBB59_3:                               ; =>This Loop Header: Depth=1
                                        ;     Child Loop BB59_6 Depth 2
                                        ;     Child Loop BB59_10 Depth 2
                                        ;       Child Loop BB59_12 Depth 3
	s_ashr_i32 s27, s26, 31
	s_lshl_b64 s[16:17], s[26:27], 2
	s_add_u32 s16, s18, s16
	s_addc_u32 s17, s19, s17
	global_load_dword v1, v12, s[16:17]
	s_waitcnt vmcnt(0)
	v_readfirstlane_b32 s16, v1
	s_sub_i32 s27, s16, s12
	s_cmp_ge_i32 s27, s6
	s_mov_b64 s[16:17], -1
	s_cbranch_scc1 .LBB59_2
; %bb.4:                                ;   in Loop: Header=BB59_3 Depth=1
	s_and_saveexec_b64 s[16:17], s[0:1]
	s_cbranch_execz .LBB59_7
; %bb.5:                                ;   in Loop: Header=BB59_3 Depth=1
	s_add_i32 s28, s27, s33
	s_ashr_i32 s29, s28, 31
	s_lshl_b64 s[28:29], s[28:29], 2
	s_add_u32 s28, s8, s28
	s_addc_u32 s29, s9, s29
	global_load_dword v1, v12, s[28:29] glc
	s_waitcnt vmcnt(0)
	v_cmp_ne_u32_e32 vcc, 0, v1
	s_cbranch_vccnz .LBB59_7
.LBB59_6:                               ;   Parent Loop BB59_3 Depth=1
                                        ; =>  This Inner Loop Header: Depth=2
	global_load_dword v1, v12, s[28:29] glc
	s_waitcnt vmcnt(0)
	v_cmp_eq_u32_e32 vcc, 0, v1
	s_cbranch_vccnz .LBB59_6
.LBB59_7:                               ;   in Loop: Header=BB59_3 Depth=1
	s_or_b64 exec, exec, s[16:17]
	buffer_wbinvl1_vol
	s_barrier
	s_and_saveexec_b64 s[16:17], s[2:3]
	s_cbranch_execz .LBB59_16
; %bb.8:                                ;   in Loop: Header=BB59_3 Depth=1
	s_mul_i32 s28, s38, s27
	s_mul_i32 s40, s26, s34
	v_add_u32_e32 v13, s28, v9
	s_mov_b64 s[28:29], 0
	v_mov_b32_e32 v14, v11
	v_mov_b32_e32 v15, v8
	s_branch .LBB59_10
.LBB59_9:                               ;   in Loop: Header=BB59_10 Depth=2
	v_add_u32_e32 v5, s7, v15
	v_mad_u64_u32 v[5:6], s[30:31], v5, s35, v[9:10]
	v_mov_b32_e32 v7, s23
	v_add_u32_e32 v15, 16, v15
	v_ashrrev_i32_e32 v6, 31, v5
	v_lshlrev_b64 v[5:6], 4, v[5:6]
	v_add_u32_e32 v14, s39, v14
	v_add_co_u32_e32 v20, vcc, s22, v5
	v_addc_co_u32_e32 v21, vcc, v7, v6, vcc
	global_load_dwordx4 v[16:19], v[20:21], off
	v_cmp_le_i32_e32 vcc, s34, v15
	s_or_b64 s[28:29], vcc, s[28:29]
	s_waitcnt vmcnt(0)
	v_add_f64 v[3:4], v[16:17], -v[3:4]
	v_add_f64 v[5:6], v[18:19], -v[1:2]
	global_store_dwordx4 v[20:21], v[3:6], off
	s_andn2_b64 exec, exec, s[28:29]
	s_cbranch_execz .LBB59_16
.LBB59_10:                              ;   Parent Loop BB59_3 Depth=1
                                        ; =>  This Loop Header: Depth=2
                                        ;       Child Loop BB59_12 Depth 3
	v_mov_b32_e32 v1, 0
	v_mov_b32_e32 v3, 0
	;; [unrolled: 1-line block ×3, first 2 shown]
	s_mov_b32 s41, 0
	v_mov_b32_e32 v4, 0
	v_mov_b32_e32 v5, v13
	s_branch .LBB59_12
.LBB59_11:                              ;   in Loop: Header=BB59_12 Depth=3
	v_ashrrev_i32_e32 v7, 31, v6
	v_lshlrev_b64 v[6:7], 4, v[6:7]
	v_mov_b32_e32 v16, s11
	v_add_co_u32_e32 v6, vcc, s10, v6
	v_addc_co_u32_e32 v7, vcc, v16, v7, vcc
	global_load_dwordx4 v[16:19], v[6:7], off
	v_ashrrev_i32_e32 v6, 31, v5
	v_lshlrev_b64 v[6:7], 4, v[5:6]
	v_mov_b32_e32 v20, s23
	v_add_co_u32_e32 v6, vcc, s22, v6
	v_addc_co_u32_e32 v7, vcc, v20, v7, vcc
	global_load_dwordx4 v[20:23], v[6:7], off
	s_add_i32 s41, s41, 1
	s_cmp_eq_u32 s34, s41
	v_add_u32_e32 v5, s35, v5
	s_waitcnt vmcnt(0)
	v_fma_f64 v[3:4], v[16:17], v[20:21], v[3:4]
	v_fma_f64 v[1:2], v[18:19], v[20:21], v[1:2]
	v_fma_f64 v[3:4], -v[18:19], v[22:23], v[3:4]
	v_fma_f64 v[1:2], v[16:17], v[22:23], v[1:2]
	s_cbranch_scc1 .LBB59_9
.LBB59_12:                              ;   Parent Loop BB59_3 Depth=1
                                        ;     Parent Loop BB59_10 Depth=2
                                        ; =>    This Inner Loop Header: Depth=3
	s_and_b64 vcc, exec, s[4:5]
	s_cbranch_vccz .LBB59_14
; %bb.13:                               ;   in Loop: Header=BB59_12 Depth=3
	s_add_i32 s30, s41, s40
	s_mul_i32 s30, s30, s34
	v_add_u32_e32 v6, s30, v15
	s_cbranch_execnz .LBB59_11
	s_branch .LBB59_15
.LBB59_14:                              ;   in Loop: Header=BB59_12 Depth=3
                                        ; implicit-def: $vgpr6
.LBB59_15:                              ;   in Loop: Header=BB59_12 Depth=3
	v_add_u32_e32 v6, s41, v14
	s_branch .LBB59_11
.LBB59_16:                              ;   in Loop: Header=BB59_3 Depth=1
	s_or_b64 exec, exec, s[16:17]
	s_add_i32 s26, s26, 1
	s_cmp_ge_i32 s26, s15
	v_add_u32_e32 v11, s37, v11
	s_cselect_b64 s[16:17], -1, 0
	s_and_b64 vcc, exec, s[16:17]
	s_cbranch_vccz .LBB59_3
	s_branch .LBB59_18
.LBB59_17:
	s_mov_b32 s27, s24
.LBB59_18:
	s_cmp_lt_i32 s6, s24
	s_cselect_b64 s[4:5], -1, 0
	s_cmp_eq_u32 s6, s27
	s_cselect_b64 s[0:1], -1, 0
	v_cmp_gt_i32_e32 vcc, s25, v9
	s_and_b64 s[0:1], vcc, s[0:1]
	s_cmp_gt_i32 s34, 0
	s_cselect_b64 s[2:3], -1, 0
	s_and_b64 s[0:1], s[0:1], s[2:3]
	s_mov_b32 s28, 0
	s_and_b64 s[2:3], s[0:1], s[4:5]
	s_mov_b64 s[0:1], 0
	s_and_saveexec_b64 s[16:17], s[2:3]
	s_cbranch_execz .LBB59_34
; %bb.19:
	v_add_u32_e32 v1, s7, v8
	v_mul_lo_u32 v1, s35, v1
	s_cmp_eq_u32 s13, 0
	s_cselect_b64 s[0:1], -1, 0
	s_cmp_lg_u32 s14, 0
	v_add_u32_e32 v1, s35, v1
	v_add3_u32 v13, v10, v1, s36
	v_cndmask_b32_e64 v1, 0, 1, s[0:1]
	s_cselect_b64 s[14:15], -1, 0
	v_add_u32_e32 v12, 1, v8
	s_mul_i32 s13, s26, s34
	s_lshl_b32 s29, s35, 4
	s_mul_i32 s30, s26, s37
	s_add_i32 s31, s34, 1
	s_mov_b64 s[18:19], 0
	v_cmp_ne_u32_e64 s[0:1], 1, v1
	v_mov_b32_e32 v14, 0
	v_mov_b32_e32 v15, s23
	s_branch .LBB59_21
.LBB59_20:                              ;   in Loop: Header=BB59_21 Depth=1
	s_or_b64 exec, exec, s[2:3]
	s_add_i32 s28, s28, 1
	s_add_i32 s30, s30, s31
	s_cmp_eq_u32 s28, s34
	v_add_u32_e32 v13, s35, v13
	s_cbranch_scc1 .LBB59_33
.LBB59_21:                              ; =>This Loop Header: Depth=1
                                        ;     Child Loop BB59_29 Depth 2
	s_and_b64 vcc, exec, s[0:1]
	s_cbranch_vccz .LBB59_23
; %bb.22:                               ;   in Loop: Header=BB59_21 Depth=1
	v_mov_b32_e32 v7, 0
	v_mov_b32_e32 v5, 0
	v_mov_b32_e32 v8, 0
	v_mov_b32_e32 v6, 0x3ff00000
	s_branch .LBB59_24
.LBB59_23:                              ;   in Loop: Header=BB59_21 Depth=1
	s_add_i32 s2, s28, s13
	s_mul_i32 s2, s2, s34
	s_add_i32 s2, s2, s28
	s_ashr_i32 s3, s2, 31
	s_lshl_b64 s[2:3], s[2:3], 4
	s_add_u32 s2, s10, s2
	s_addc_u32 s3, s11, s3
	global_load_dwordx4 v[5:8], v14, s[2:3]
.LBB59_24:                              ;   in Loop: Header=BB59_21 Depth=1
	s_add_i32 s2, s28, s7
	s_mul_i32 s2, s2, s35
	s_waitcnt vmcnt(0)
	v_add_u32_e32 v1, s2, v9
	v_ashrrev_i32_e32 v2, 31, v1
	v_lshlrev_b64 v[1:2], 4, v[1:2]
	s_waitcnt vmcnt(0)
	v_cmp_eq_f64_e64 s[2:3], 0, v[7:8]
	v_add_co_u32_e32 v10, vcc, s22, v1
	v_addc_co_u32_e32 v11, vcc, v15, v2, vcc
	global_load_dwordx4 v[1:4], v[10:11], off
	v_cmp_eq_f64_e32 vcc, 0, v[5:6]
	s_and_b64 s[2:3], vcc, s[2:3]
	s_and_b64 vcc, exec, s[2:3]
	s_cbranch_vccnz .LBB59_26
; %bb.25:                               ;   in Loop: Header=BB59_21 Depth=1
	v_mul_f64 v[16:17], v[7:8], v[7:8]
	v_fma_f64 v[16:17], v[5:6], v[5:6], v[16:17]
	v_div_scale_f64 v[18:19], s[2:3], v[16:17], v[16:17], 1.0
	v_rcp_f64_e32 v[20:21], v[18:19]
	v_fma_f64 v[22:23], -v[18:19], v[20:21], 1.0
	v_fma_f64 v[20:21], v[20:21], v[22:23], v[20:21]
	v_div_scale_f64 v[22:23], vcc, 1.0, v[16:17], 1.0
	v_fma_f64 v[24:25], -v[18:19], v[20:21], 1.0
	v_fma_f64 v[20:21], v[20:21], v[24:25], v[20:21]
	v_mul_f64 v[24:25], v[22:23], v[20:21]
	v_fma_f64 v[18:19], -v[18:19], v[24:25], v[22:23]
	v_div_fmas_f64 v[18:19], v[18:19], v[20:21], v[24:25]
	s_waitcnt vmcnt(0)
	v_mul_f64 v[20:21], v[7:8], v[3:4]
	v_mul_f64 v[7:8], v[7:8], -v[1:2]
	v_fma_f64 v[1:2], v[1:2], v[5:6], v[20:21]
	v_fma_f64 v[3:4], v[3:4], v[5:6], v[7:8]
	v_div_fixup_f64 v[16:17], v[18:19], v[16:17], 1.0
	v_mul_f64 v[1:2], v[16:17], v[1:2]
	v_mul_f64 v[3:4], v[16:17], v[3:4]
	global_store_dwordx4 v[10:11], v[1:4], off
	v_add_u32_e32 v8, s28, v12
	v_cmp_gt_i32_e32 vcc, s34, v8
	s_and_saveexec_b64 s[2:3], vcc
	s_cbranch_execz .LBB59_20
	s_branch .LBB59_27
.LBB59_26:                              ;   in Loop: Header=BB59_21 Depth=1
	s_mov_b64 s[18:19], -1
	v_add_u32_e32 v8, s28, v12
	v_cmp_gt_i32_e32 vcc, s34, v8
	s_and_saveexec_b64 s[2:3], vcc
	s_cbranch_execz .LBB59_20
.LBB59_27:                              ;   in Loop: Header=BB59_21 Depth=1
	s_mov_b64 s[24:25], 0
	v_mov_b32_e32 v5, v13
	v_mov_b32_e32 v10, v12
	s_branch .LBB59_29
.LBB59_28:                              ;   in Loop: Header=BB59_29 Depth=2
	v_ashrrev_i32_e32 v7, 31, v6
	v_lshlrev_b64 v[6:7], 4, v[6:7]
	v_mov_b32_e32 v11, s11
	v_add_co_u32_e32 v6, vcc, s10, v6
	v_addc_co_u32_e32 v7, vcc, v11, v7, vcc
	global_load_dwordx4 v[16:19], v[6:7], off
	v_ashrrev_i32_e32 v6, 31, v5
	v_lshlrev_b64 v[6:7], 4, v[5:6]
	v_mov_b32_e32 v11, s23
	v_add_co_u32_e32 v6, vcc, s22, v6
	v_addc_co_u32_e32 v7, vcc, v11, v7, vcc
	global_load_dwordx4 v[20:23], v[6:7], off
	v_add_u32_e32 v10, 16, v10
	v_add_u32_e32 v11, s28, v10
	v_cmp_le_i32_e32 vcc, s34, v11
	v_add_u32_e32 v8, 16, v8
	s_or_b64 s[24:25], vcc, s[24:25]
	v_add_u32_e32 v5, s29, v5
	s_waitcnt vmcnt(1)
	v_mul_f64 v[24:25], v[18:19], -v[3:4]
	v_mul_f64 v[18:19], v[1:2], v[18:19]
	v_fma_f64 v[24:25], v[1:2], v[16:17], v[24:25]
	v_fma_f64 v[18:19], v[3:4], v[16:17], v[18:19]
	s_waitcnt vmcnt(0)
	v_add_f64 v[16:17], v[20:21], -v[24:25]
	v_add_f64 v[18:19], v[22:23], -v[18:19]
	global_store_dwordx4 v[6:7], v[16:19], off
	s_andn2_b64 exec, exec, s[24:25]
	s_cbranch_execz .LBB59_20
.LBB59_29:                              ;   Parent Loop BB59_21 Depth=1
                                        ; =>  This Inner Loop Header: Depth=2
	s_and_b64 vcc, exec, s[14:15]
	s_cbranch_vccz .LBB59_31
; %bb.30:                               ;   in Loop: Header=BB59_29 Depth=2
	v_add_u32_e32 v6, s30, v10
	s_cbranch_execnz .LBB59_28
	s_branch .LBB59_32
.LBB59_31:                              ;   in Loop: Header=BB59_29 Depth=2
                                        ; implicit-def: $vgpr6
.LBB59_32:                              ;   in Loop: Header=BB59_29 Depth=2
	v_add_u32_e32 v6, s13, v8
	v_mul_lo_u32 v6, v6, s34
	v_add_u32_e32 v6, s28, v6
	s_branch .LBB59_28
.LBB59_33:
	s_and_b64 s[0:1], s[18:19], exec
.LBB59_34:
	s_or_b64 exec, exec, s[16:17]
	v_cmp_eq_u32_e32 vcc, 0, v0
	s_and_b64 s[2:3], vcc, s[4:5]
	s_waitcnt vmcnt(0)
	buffer_wbinvl1_vol
	s_barrier
	s_and_saveexec_b64 s[4:5], s[2:3]
	s_cbranch_execz .LBB59_38
; %bb.35:
	s_add_i32 s2, s6, s33
	s_ashr_i32 s3, s2, 31
	s_lshl_b64 s[2:3], s[2:3], 2
	s_add_u32 s2, s8, s2
	s_addc_u32 s3, s9, s3
	v_mov_b32_e32 v0, 0
	v_mov_b32_e32 v1, 1
	global_store_dword v0, v1, s[2:3]
	s_and_b64 exec, exec, s[0:1]
	s_cbranch_execz .LBB59_38
; %bb.36:
	v_mbcnt_lo_u32_b32 v0, exec_lo, 0
	v_mbcnt_hi_u32_b32 v0, exec_hi, v0
	v_cmp_eq_u32_e32 vcc, 0, v0
	s_and_b64 exec, exec, vcc
	s_cbranch_execz .LBB59_38
; %bb.37:
	s_add_i32 s0, s6, s12
	v_mov_b32_e32 v0, 0
	v_mov_b32_e32 v1, s0
	global_atomic_smin v0, v1, s[20:21]
.LBB59_38:
	s_endpgm
	.section	.rodata,"a",@progbits
	.p2align	6, 0x0
	.amdhsa_kernel _ZN9rocsparseL24bsrsm_lower_large_kernelILj256ELj16ELb0E21rocsparse_complex_numIdEEEviiPKiS4_PKT2_iPS5_iPiS4_S9_21rocsparse_index_base_20rocsparse_diag_type_20rocsparse_direction_
		.amdhsa_group_segment_fixed_size 0
		.amdhsa_private_segment_fixed_size 0
		.amdhsa_kernarg_size 92
		.amdhsa_user_sgpr_count 6
		.amdhsa_user_sgpr_private_segment_buffer 1
		.amdhsa_user_sgpr_dispatch_ptr 0
		.amdhsa_user_sgpr_queue_ptr 0
		.amdhsa_user_sgpr_kernarg_segment_ptr 1
		.amdhsa_user_sgpr_dispatch_id 0
		.amdhsa_user_sgpr_flat_scratch_init 0
		.amdhsa_user_sgpr_private_segment_size 0
		.amdhsa_uses_dynamic_stack 0
		.amdhsa_system_sgpr_private_segment_wavefront_offset 0
		.amdhsa_system_sgpr_workgroup_id_x 1
		.amdhsa_system_sgpr_workgroup_id_y 0
		.amdhsa_system_sgpr_workgroup_id_z 0
		.amdhsa_system_sgpr_workgroup_info 0
		.amdhsa_system_vgpr_workitem_id 0
		.amdhsa_next_free_vgpr 26
		.amdhsa_next_free_sgpr 42
		.amdhsa_reserve_vcc 1
		.amdhsa_reserve_flat_scratch 0
		.amdhsa_float_round_mode_32 0
		.amdhsa_float_round_mode_16_64 0
		.amdhsa_float_denorm_mode_32 3
		.amdhsa_float_denorm_mode_16_64 3
		.amdhsa_dx10_clamp 1
		.amdhsa_ieee_mode 1
		.amdhsa_fp16_overflow 0
		.amdhsa_exception_fp_ieee_invalid_op 0
		.amdhsa_exception_fp_denorm_src 0
		.amdhsa_exception_fp_ieee_div_zero 0
		.amdhsa_exception_fp_ieee_overflow 0
		.amdhsa_exception_fp_ieee_underflow 0
		.amdhsa_exception_fp_ieee_inexact 0
		.amdhsa_exception_int_div_zero 0
	.end_amdhsa_kernel
	.section	.text._ZN9rocsparseL24bsrsm_lower_large_kernelILj256ELj16ELb0E21rocsparse_complex_numIdEEEviiPKiS4_PKT2_iPS5_iPiS4_S9_21rocsparse_index_base_20rocsparse_diag_type_20rocsparse_direction_,"axG",@progbits,_ZN9rocsparseL24bsrsm_lower_large_kernelILj256ELj16ELb0E21rocsparse_complex_numIdEEEviiPKiS4_PKT2_iPS5_iPiS4_S9_21rocsparse_index_base_20rocsparse_diag_type_20rocsparse_direction_,comdat
.Lfunc_end59:
	.size	_ZN9rocsparseL24bsrsm_lower_large_kernelILj256ELj16ELb0E21rocsparse_complex_numIdEEEviiPKiS4_PKT2_iPS5_iPiS4_S9_21rocsparse_index_base_20rocsparse_diag_type_20rocsparse_direction_, .Lfunc_end59-_ZN9rocsparseL24bsrsm_lower_large_kernelILj256ELj16ELb0E21rocsparse_complex_numIdEEEviiPKiS4_PKT2_iPS5_iPiS4_S9_21rocsparse_index_base_20rocsparse_diag_type_20rocsparse_direction_
                                        ; -- End function
	.set _ZN9rocsparseL24bsrsm_lower_large_kernelILj256ELj16ELb0E21rocsparse_complex_numIdEEEviiPKiS4_PKT2_iPS5_iPiS4_S9_21rocsparse_index_base_20rocsparse_diag_type_20rocsparse_direction_.num_vgpr, 26
	.set _ZN9rocsparseL24bsrsm_lower_large_kernelILj256ELj16ELb0E21rocsparse_complex_numIdEEEviiPKiS4_PKT2_iPS5_iPiS4_S9_21rocsparse_index_base_20rocsparse_diag_type_20rocsparse_direction_.num_agpr, 0
	.set _ZN9rocsparseL24bsrsm_lower_large_kernelILj256ELj16ELb0E21rocsparse_complex_numIdEEEviiPKiS4_PKT2_iPS5_iPiS4_S9_21rocsparse_index_base_20rocsparse_diag_type_20rocsparse_direction_.numbered_sgpr, 42
	.set _ZN9rocsparseL24bsrsm_lower_large_kernelILj256ELj16ELb0E21rocsparse_complex_numIdEEEviiPKiS4_PKT2_iPS5_iPiS4_S9_21rocsparse_index_base_20rocsparse_diag_type_20rocsparse_direction_.num_named_barrier, 0
	.set _ZN9rocsparseL24bsrsm_lower_large_kernelILj256ELj16ELb0E21rocsparse_complex_numIdEEEviiPKiS4_PKT2_iPS5_iPiS4_S9_21rocsparse_index_base_20rocsparse_diag_type_20rocsparse_direction_.private_seg_size, 0
	.set _ZN9rocsparseL24bsrsm_lower_large_kernelILj256ELj16ELb0E21rocsparse_complex_numIdEEEviiPKiS4_PKT2_iPS5_iPiS4_S9_21rocsparse_index_base_20rocsparse_diag_type_20rocsparse_direction_.uses_vcc, 1
	.set _ZN9rocsparseL24bsrsm_lower_large_kernelILj256ELj16ELb0E21rocsparse_complex_numIdEEEviiPKiS4_PKT2_iPS5_iPiS4_S9_21rocsparse_index_base_20rocsparse_diag_type_20rocsparse_direction_.uses_flat_scratch, 0
	.set _ZN9rocsparseL24bsrsm_lower_large_kernelILj256ELj16ELb0E21rocsparse_complex_numIdEEEviiPKiS4_PKT2_iPS5_iPiS4_S9_21rocsparse_index_base_20rocsparse_diag_type_20rocsparse_direction_.has_dyn_sized_stack, 0
	.set _ZN9rocsparseL24bsrsm_lower_large_kernelILj256ELj16ELb0E21rocsparse_complex_numIdEEEviiPKiS4_PKT2_iPS5_iPiS4_S9_21rocsparse_index_base_20rocsparse_diag_type_20rocsparse_direction_.has_recursion, 0
	.set _ZN9rocsparseL24bsrsm_lower_large_kernelILj256ELj16ELb0E21rocsparse_complex_numIdEEEviiPKiS4_PKT2_iPS5_iPiS4_S9_21rocsparse_index_base_20rocsparse_diag_type_20rocsparse_direction_.has_indirect_call, 0
	.section	.AMDGPU.csdata,"",@progbits
; Kernel info:
; codeLenInByte = 1680
; TotalNumSgprs: 46
; NumVgprs: 26
; ScratchSize: 0
; MemoryBound: 0
; FloatMode: 240
; IeeeMode: 1
; LDSByteSize: 0 bytes/workgroup (compile time only)
; SGPRBlocks: 5
; VGPRBlocks: 6
; NumSGPRsForWavesPerEU: 46
; NumVGPRsForWavesPerEU: 26
; Occupancy: 9
; WaveLimiterHint : 1
; COMPUTE_PGM_RSRC2:SCRATCH_EN: 0
; COMPUTE_PGM_RSRC2:USER_SGPR: 6
; COMPUTE_PGM_RSRC2:TRAP_HANDLER: 0
; COMPUTE_PGM_RSRC2:TGID_X_EN: 1
; COMPUTE_PGM_RSRC2:TGID_Y_EN: 0
; COMPUTE_PGM_RSRC2:TGID_Z_EN: 0
; COMPUTE_PGM_RSRC2:TIDIG_COMP_CNT: 0
	.section	.text._ZN9rocsparseL24bsrsm_upper_large_kernelILj512ELj16ELb0E21rocsparse_complex_numIdEEEviiPKiS4_PKT2_iPS5_iPiS4_S9_21rocsparse_index_base_20rocsparse_diag_type_20rocsparse_direction_,"axG",@progbits,_ZN9rocsparseL24bsrsm_upper_large_kernelILj512ELj16ELb0E21rocsparse_complex_numIdEEEviiPKiS4_PKT2_iPS5_iPiS4_S9_21rocsparse_index_base_20rocsparse_diag_type_20rocsparse_direction_,comdat
	.globl	_ZN9rocsparseL24bsrsm_upper_large_kernelILj512ELj16ELb0E21rocsparse_complex_numIdEEEviiPKiS4_PKT2_iPS5_iPiS4_S9_21rocsparse_index_base_20rocsparse_diag_type_20rocsparse_direction_ ; -- Begin function _ZN9rocsparseL24bsrsm_upper_large_kernelILj512ELj16ELb0E21rocsparse_complex_numIdEEEviiPKiS4_PKT2_iPS5_iPiS4_S9_21rocsparse_index_base_20rocsparse_diag_type_20rocsparse_direction_
	.p2align	8
	.type	_ZN9rocsparseL24bsrsm_upper_large_kernelILj512ELj16ELb0E21rocsparse_complex_numIdEEEviiPKiS4_PKT2_iPS5_iPiS4_S9_21rocsparse_index_base_20rocsparse_diag_type_20rocsparse_direction_,@function
_ZN9rocsparseL24bsrsm_upper_large_kernelILj512ELj16ELb0E21rocsparse_complex_numIdEEEviiPKiS4_PKT2_iPS5_iPiS4_S9_21rocsparse_index_base_20rocsparse_diag_type_20rocsparse_direction_: ; @_ZN9rocsparseL24bsrsm_upper_large_kernelILj512ELj16ELb0E21rocsparse_complex_numIdEEEviiPKiS4_PKT2_iPS5_iPiS4_S9_21rocsparse_index_base_20rocsparse_diag_type_20rocsparse_direction_
; %bb.0:
	s_load_dwordx2 s[24:25], s[4:5], 0x0
	s_load_dwordx4 s[16:19], s[4:5], 0x8
	s_load_dwordx4 s[8:11], s[4:5], 0x38
	s_load_dwordx2 s[20:21], s[4:5], 0x48
	v_lshrrev_b32_e32 v8, 5, v0
	v_and_b32_e32 v12, 31, v0
	s_waitcnt lgkmcnt(0)
	v_cvt_f32_u32_e32 v1, s24
	s_sub_i32 s0, 0, s24
	v_rcp_iflag_f32_e32 v1, v1
	v_mul_f32_e32 v1, 0x4f7ffffe, v1
	v_cvt_u32_f32_e32 v1, v1
	v_readfirstlane_b32 s1, v1
	s_mul_i32 s0, s0, s1
	s_mul_hi_u32 s0, s1, s0
	s_add_i32 s1, s1, s0
	s_mul_hi_u32 s0, s6, s1
	s_mul_i32 s1, s0, s24
	s_sub_i32 s1, s6, s1
	s_add_i32 s2, s0, 1
	s_sub_i32 s3, s1, s24
	s_cmp_ge_u32 s1, s24
	s_cselect_b32 s0, s2, s0
	s_cselect_b32 s1, s3, s1
	s_add_i32 s2, s0, 1
	s_cmp_ge_u32 s1, s24
	s_cselect_b32 s26, s2, s0
	s_mul_i32 s33, s26, s24
	s_sub_i32 s0, s6, s33
	s_ashr_i32 s1, s0, 31
	s_lshl_b64 s[0:1], s[0:1], 2
	s_add_u32 s0, s10, s0
	s_addc_u32 s1, s11, s1
	s_load_dword s6, s[0:1], 0x0
	s_load_dwordx2 s[10:11], s[4:5], 0x18
	s_load_dword s34, s[4:5], 0x20
	s_load_dwordx2 s[22:23], s[4:5], 0x28
	s_load_dword s35, s[4:5], 0x30
	s_load_dwordx4 s[12:15], s[4:5], 0x50
	s_waitcnt lgkmcnt(0)
	s_ashr_i32 s7, s6, 31
	s_lshl_b64 s[0:1], s[6:7], 2
	s_add_u32 s0, s16, s0
	s_addc_u32 s1, s17, s1
	s_load_dwordx2 s[2:3], s[0:1], 0x0
	s_lshl_b32 s36, s26, 4
	s_not_b32 s0, s12
	v_or_b32_e32 v9, s36, v8
	v_cmp_gt_i32_e32 vcc, s25, v9
	s_waitcnt lgkmcnt(0)
	s_sub_i32 s15, s2, s12
	s_add_i32 s16, s3, s0
	s_cmp_lt_i32 s16, s15
	s_mul_i32 s7, s6, s34
	v_cmp_eq_u32_e64 s[0:1], 0, v0
	s_cbranch_scc1 .LBB60_17
; %bb.1:
	s_mul_i32 s17, s34, s16
	v_add_u32_e32 v1, s17, v12
	v_mul_lo_u32 v10, s34, v1
	v_cmp_gt_i32_e64 s[2:3], s34, v12
	s_cmp_lg_u32 s14, 0
	s_cselect_b64 s[4:5], -1, 0
	s_and_b64 s[2:3], vcc, s[2:3]
	s_mul_i32 s37, s35, s34
	s_mul_i32 s38, s34, s34
	s_lshl_b32 s39, s34, 5
	v_mov_b32_e32 v11, 0
	s_branch .LBB60_3
.LBB60_2:                               ;   in Loop: Header=BB60_3 Depth=1
                                        ; implicit-def: $vgpr10
	s_and_b64 vcc, exec, s[26:27]
	s_cbranch_vccnz .LBB60_18
.LBB60_3:                               ; =>This Loop Header: Depth=1
                                        ;     Child Loop BB60_6 Depth 2
                                        ;     Child Loop BB60_10 Depth 2
                                        ;       Child Loop BB60_12 Depth 3
	s_ashr_i32 s17, s16, 31
	s_lshl_b64 s[26:27], s[16:17], 2
	s_add_u32 s26, s18, s26
	s_addc_u32 s27, s19, s27
	global_load_dword v1, v11, s[26:27]
	s_mov_b64 s[26:27], -1
	s_waitcnt vmcnt(0)
	v_readfirstlane_b32 s17, v1
	s_sub_i32 s17, s17, s12
	s_cmp_le_i32 s17, s6
	s_cbranch_scc1 .LBB60_2
; %bb.4:                                ;   in Loop: Header=BB60_3 Depth=1
	s_and_saveexec_b64 s[26:27], s[0:1]
	s_cbranch_execz .LBB60_7
; %bb.5:                                ;   in Loop: Header=BB60_3 Depth=1
	s_add_i32 s28, s17, s33
	s_ashr_i32 s29, s28, 31
	s_lshl_b64 s[28:29], s[28:29], 2
	s_add_u32 s28, s8, s28
	s_addc_u32 s29, s9, s29
	global_load_dword v1, v11, s[28:29] glc
	s_waitcnt vmcnt(0)
	v_cmp_ne_u32_e32 vcc, 0, v1
	s_cbranch_vccnz .LBB60_7
.LBB60_6:                               ;   Parent Loop BB60_3 Depth=1
                                        ; =>  This Inner Loop Header: Depth=2
	global_load_dword v1, v11, s[28:29] glc
	s_waitcnt vmcnt(0)
	v_cmp_eq_u32_e32 vcc, 0, v1
	s_cbranch_vccnz .LBB60_6
.LBB60_7:                               ;   in Loop: Header=BB60_3 Depth=1
	s_or_b64 exec, exec, s[26:27]
	buffer_wbinvl1_vol
	s_barrier
	s_and_saveexec_b64 s[26:27], s[2:3]
	s_cbranch_execz .LBB60_16
; %bb.8:                                ;   in Loop: Header=BB60_3 Depth=1
	s_mul_i32 s28, s37, s17
	s_mul_i32 s40, s16, s34
	v_add_u32_e32 v13, s28, v9
	s_mov_b64 s[28:29], 0
	v_mov_b32_e32 v14, v10
	v_mov_b32_e32 v15, v12
	s_branch .LBB60_10
.LBB60_9:                               ;   in Loop: Header=BB60_10 Depth=2
	v_add_u32_e32 v5, s7, v15
	v_mad_u64_u32 v[5:6], s[30:31], v5, s35, v[9:10]
	v_mov_b32_e32 v7, s23
	v_add_u32_e32 v15, 32, v15
	v_ashrrev_i32_e32 v6, 31, v5
	v_lshlrev_b64 v[5:6], 4, v[5:6]
	v_add_u32_e32 v14, s39, v14
	v_add_co_u32_e32 v20, vcc, s22, v5
	v_addc_co_u32_e32 v21, vcc, v7, v6, vcc
	global_load_dwordx4 v[16:19], v[20:21], off
	v_cmp_le_i32_e32 vcc, s34, v15
	s_or_b64 s[28:29], vcc, s[28:29]
	s_waitcnt vmcnt(0)
	v_add_f64 v[3:4], v[16:17], -v[3:4]
	v_add_f64 v[5:6], v[18:19], -v[1:2]
	global_store_dwordx4 v[20:21], v[3:6], off
	s_andn2_b64 exec, exec, s[28:29]
	s_cbranch_execz .LBB60_16
.LBB60_10:                              ;   Parent Loop BB60_3 Depth=1
                                        ; =>  This Loop Header: Depth=2
                                        ;       Child Loop BB60_12 Depth 3
	v_mov_b32_e32 v1, 0
	v_mov_b32_e32 v3, 0
	;; [unrolled: 1-line block ×3, first 2 shown]
	s_mov_b32 s41, 0
	v_mov_b32_e32 v4, 0
	v_mov_b32_e32 v5, v13
	s_branch .LBB60_12
.LBB60_11:                              ;   in Loop: Header=BB60_12 Depth=3
	v_ashrrev_i32_e32 v7, 31, v6
	v_lshlrev_b64 v[6:7], 4, v[6:7]
	v_mov_b32_e32 v16, s11
	v_add_co_u32_e32 v6, vcc, s10, v6
	v_addc_co_u32_e32 v7, vcc, v16, v7, vcc
	global_load_dwordx4 v[16:19], v[6:7], off
	v_ashrrev_i32_e32 v6, 31, v5
	v_lshlrev_b64 v[6:7], 4, v[5:6]
	v_mov_b32_e32 v20, s23
	v_add_co_u32_e32 v6, vcc, s22, v6
	v_addc_co_u32_e32 v7, vcc, v20, v7, vcc
	global_load_dwordx4 v[20:23], v[6:7], off
	s_add_i32 s41, s41, 1
	s_cmp_eq_u32 s34, s41
	v_add_u32_e32 v5, s35, v5
	s_waitcnt vmcnt(0)
	v_fma_f64 v[3:4], v[16:17], v[20:21], v[3:4]
	v_fma_f64 v[1:2], v[18:19], v[20:21], v[1:2]
	v_fma_f64 v[3:4], -v[18:19], v[22:23], v[3:4]
	v_fma_f64 v[1:2], v[16:17], v[22:23], v[1:2]
	s_cbranch_scc1 .LBB60_9
.LBB60_12:                              ;   Parent Loop BB60_3 Depth=1
                                        ;     Parent Loop BB60_10 Depth=2
                                        ; =>    This Inner Loop Header: Depth=3
	s_and_b64 vcc, exec, s[4:5]
	s_cbranch_vccz .LBB60_14
; %bb.13:                               ;   in Loop: Header=BB60_12 Depth=3
	s_add_i32 s30, s41, s40
	s_mul_i32 s30, s30, s34
	v_add_u32_e32 v6, s30, v15
	s_cbranch_execnz .LBB60_11
	s_branch .LBB60_15
.LBB60_14:                              ;   in Loop: Header=BB60_12 Depth=3
                                        ; implicit-def: $vgpr6
.LBB60_15:                              ;   in Loop: Header=BB60_12 Depth=3
	v_add_u32_e32 v6, s41, v14
	s_branch .LBB60_11
.LBB60_16:                              ;   in Loop: Header=BB60_3 Depth=1
	s_or_b64 exec, exec, s[26:27]
	s_add_i32 s28, s16, -1
	s_cmp_le_i32 s16, s15
	v_subrev_u32_e32 v10, s38, v10
	s_cselect_b64 s[26:27], -1, 0
	s_mov_b32 s16, s28
	s_and_b64 vcc, exec, s[26:27]
	s_cbranch_vccz .LBB60_3
	s_branch .LBB60_18
.LBB60_17:
	s_mov_b32 s17, s24
.LBB60_18:
	s_cmp_lt_i32 s6, s24
	s_cselect_b64 s[4:5], -1, 0
	s_cmp_eq_u32 s6, s17
	s_cselect_b64 s[0:1], -1, 0
	v_cmp_gt_i32_e32 vcc, s25, v9
	s_and_b64 s[0:1], vcc, s[0:1]
	s_cmp_gt_i32 s34, 0
	s_cselect_b64 s[2:3], -1, 0
	s_and_b64 s[0:1], s[0:1], s[2:3]
	s_and_b64 s[2:3], s[0:1], s[4:5]
	s_mov_b64 s[0:1], 0
	s_and_saveexec_b64 s[18:19], s[2:3]
	s_cbranch_execz .LBB60_35
; %bb.19:
	v_add_u32_e32 v1, s7, v12
	s_cmp_eq_u32 s13, 0
	v_mul_lo_u32 v1, s35, v1
	s_cselect_b64 s[0:1], -1, 0
	s_cmp_lg_u32 s14, 0
	s_cselect_b64 s[14:15], -1, 0
	s_add_i32 s2, s16, 1
	s_mul_i32 s2, s34, s2
	v_add3_u32 v13, v8, v1, s36
	s_add_i32 s2, s2, -1
	v_cndmask_b32_e64 v1, 0, 1, s[0:1]
	s_mul_i32 s13, s16, s34
	s_lshl_b32 s28, s35, 5
	s_mul_i32 s29, s34, s2
	s_mov_b64 s[16:17], 0
	v_cmp_ne_u32_e64 s[0:1], 1, v1
	v_mov_b32_e32 v14, 0
	v_mov_b32_e32 v15, s23
	s_mov_b32 s30, s34
	s_and_b64 vcc, exec, s[0:1]
	s_add_i32 s31, s30, -1
	s_cbranch_vccz .LBB60_21
.LBB60_20:
	v_mov_b32_e32 v7, 0
	v_mov_b32_e32 v5, 0
	;; [unrolled: 1-line block ×4, first 2 shown]
	s_branch .LBB60_22
.LBB60_21:
	s_add_i32 s2, s31, s13
	s_mul_i32 s2, s2, s34
	s_add_i32 s2, s2, s31
	s_ashr_i32 s3, s2, 31
	s_lshl_b64 s[2:3], s[2:3], 4
	s_add_u32 s2, s10, s2
	s_addc_u32 s3, s11, s3
	global_load_dwordx4 v[5:8], v14, s[2:3]
.LBB60_22:
	s_add_i32 s2, s31, s7
	s_mul_i32 s2, s2, s35
	s_waitcnt vmcnt(0)
	v_add_u32_e32 v1, s2, v9
	v_ashrrev_i32_e32 v2, 31, v1
	v_lshlrev_b64 v[1:2], 4, v[1:2]
	s_waitcnt vmcnt(0)
	v_cmp_eq_f64_e64 s[2:3], 0, v[7:8]
	v_add_co_u32_e32 v10, vcc, s22, v1
	v_addc_co_u32_e32 v11, vcc, v15, v2, vcc
	global_load_dwordx4 v[1:4], v[10:11], off
	v_cmp_eq_f64_e32 vcc, 0, v[5:6]
	s_and_b64 s[2:3], vcc, s[2:3]
	s_and_b64 vcc, exec, s[2:3]
	s_cbranch_vccnz .LBB60_24
; %bb.23:
	s_waitcnt vmcnt(0)
	v_mul_f64 v[16:17], v[7:8], v[3:4]
	v_fma_f64 v[16:17], v[1:2], v[5:6], v[16:17]
	v_mul_f64 v[1:2], v[7:8], -v[1:2]
	v_fma_f64 v[3:4], v[3:4], v[5:6], v[1:2]
	v_mul_f64 v[1:2], v[7:8], v[7:8]
	v_fma_f64 v[1:2], v[5:6], v[5:6], v[1:2]
	v_div_scale_f64 v[5:6], s[2:3], v[1:2], v[1:2], 1.0
	v_rcp_f64_e32 v[7:8], v[5:6]
	v_fma_f64 v[18:19], -v[5:6], v[7:8], 1.0
	v_fma_f64 v[7:8], v[7:8], v[18:19], v[7:8]
	v_fma_f64 v[18:19], -v[5:6], v[7:8], 1.0
	v_fma_f64 v[7:8], v[7:8], v[18:19], v[7:8]
	v_div_scale_f64 v[18:19], vcc, 1.0, v[1:2], 1.0
	v_mul_f64 v[20:21], v[18:19], v[7:8]
	v_fma_f64 v[5:6], -v[5:6], v[20:21], v[18:19]
	s_nop 1
	v_div_fmas_f64 v[5:6], v[5:6], v[7:8], v[20:21]
	v_div_fixup_f64 v[5:6], v[5:6], v[1:2], 1.0
	v_mul_f64 v[1:2], v[5:6], v[16:17]
	v_mul_f64 v[3:4], v[5:6], v[3:4]
	global_store_dwordx4 v[10:11], v[1:4], off
	v_cmp_gt_i32_e32 vcc, s31, v12
	s_and_saveexec_b64 s[2:3], vcc
	s_cbranch_execnz .LBB60_25
	s_branch .LBB60_31
.LBB60_24:
	s_mov_b64 s[16:17], -1
	v_cmp_gt_i32_e32 vcc, s31, v12
	s_and_saveexec_b64 s[2:3], vcc
	s_cbranch_execz .LBB60_31
.LBB60_25:
	s_mov_b64 s[24:25], 0
	v_mov_b32_e32 v5, v13
	v_mov_b32_e32 v8, v12
	s_branch .LBB60_27
.LBB60_26:                              ;   in Loop: Header=BB60_27 Depth=1
	v_ashrrev_i32_e32 v7, 31, v6
	v_lshlrev_b64 v[6:7], 4, v[6:7]
	v_mov_b32_e32 v10, s11
	v_add_co_u32_e32 v6, vcc, s10, v6
	v_addc_co_u32_e32 v7, vcc, v10, v7, vcc
	global_load_dwordx4 v[16:19], v[6:7], off
	v_add_u32_e32 v8, 32, v8
	s_waitcnt vmcnt(0)
	v_mul_f64 v[6:7], v[18:19], -v[3:4]
	v_fma_f64 v[10:11], v[1:2], v[16:17], v[6:7]
	v_mul_f64 v[6:7], v[1:2], v[18:19]
	v_fma_f64 v[20:21], v[3:4], v[16:17], v[6:7]
	v_ashrrev_i32_e32 v6, 31, v5
	v_lshlrev_b64 v[6:7], 4, v[5:6]
	v_mov_b32_e32 v16, s23
	v_add_co_u32_e32 v6, vcc, s22, v6
	v_addc_co_u32_e32 v7, vcc, v16, v7, vcc
	global_load_dwordx4 v[16:19], v[6:7], off
	v_cmp_le_i32_e32 vcc, s31, v8
	s_or_b64 s[24:25], vcc, s[24:25]
	v_add_u32_e32 v5, s28, v5
	s_waitcnt vmcnt(0)
	v_add_f64 v[16:17], v[16:17], -v[10:11]
	v_add_f64 v[18:19], v[18:19], -v[20:21]
	global_store_dwordx4 v[6:7], v[16:19], off
	s_andn2_b64 exec, exec, s[24:25]
	s_cbranch_execz .LBB60_31
.LBB60_27:                              ; =>This Inner Loop Header: Depth=1
	s_and_b64 vcc, exec, s[14:15]
	s_cbranch_vccz .LBB60_29
; %bb.28:                               ;   in Loop: Header=BB60_27 Depth=1
	v_add_u32_e32 v6, s29, v8
	s_cbranch_execnz .LBB60_26
	s_branch .LBB60_30
.LBB60_29:                              ;   in Loop: Header=BB60_27 Depth=1
                                        ; implicit-def: $vgpr6
.LBB60_30:                              ;   in Loop: Header=BB60_27 Depth=1
	v_add_u32_e32 v6, s13, v8
	v_mul_lo_u32 v6, v6, s34
	v_add_u32_e32 v6, s31, v6
	s_branch .LBB60_26
.LBB60_31:
	s_or_b64 exec, exec, s[2:3]
; %bb.32:
	s_sub_i32 s29, s29, s34
	s_cmp_lt_i32 s30, 2
	s_cbranch_scc1 .LBB60_34
; %bb.33:
	s_mov_b32 s30, s31
	s_and_b64 vcc, exec, s[0:1]
	s_add_i32 s31, s30, -1
	s_cbranch_vccnz .LBB60_20
	s_branch .LBB60_21
.LBB60_34:
	s_and_b64 s[0:1], s[16:17], exec
.LBB60_35:
	s_or_b64 exec, exec, s[18:19]
	v_cmp_eq_u32_e32 vcc, 0, v0
	s_and_b64 s[2:3], vcc, s[4:5]
	s_waitcnt vmcnt(0)
	buffer_wbinvl1_vol
	s_barrier
	s_and_saveexec_b64 s[4:5], s[2:3]
	s_cbranch_execz .LBB60_39
; %bb.36:
	s_add_i32 s2, s6, s33
	s_ashr_i32 s3, s2, 31
	s_lshl_b64 s[2:3], s[2:3], 2
	s_add_u32 s2, s8, s2
	s_addc_u32 s3, s9, s3
	v_mov_b32_e32 v0, 0
	v_mov_b32_e32 v1, 1
	global_store_dword v0, v1, s[2:3]
	s_and_b64 exec, exec, s[0:1]
	s_cbranch_execz .LBB60_39
; %bb.37:
	v_mbcnt_lo_u32_b32 v0, exec_lo, 0
	v_mbcnt_hi_u32_b32 v0, exec_hi, v0
	v_cmp_eq_u32_e32 vcc, 0, v0
	s_and_b64 exec, exec, vcc
	s_cbranch_execz .LBB60_39
; %bb.38:
	s_add_i32 s0, s6, s12
	v_mov_b32_e32 v0, 0
	v_mov_b32_e32 v1, s0
	global_atomic_smin v0, v1, s[20:21]
.LBB60_39:
	s_endpgm
	.section	.rodata,"a",@progbits
	.p2align	6, 0x0
	.amdhsa_kernel _ZN9rocsparseL24bsrsm_upper_large_kernelILj512ELj16ELb0E21rocsparse_complex_numIdEEEviiPKiS4_PKT2_iPS5_iPiS4_S9_21rocsparse_index_base_20rocsparse_diag_type_20rocsparse_direction_
		.amdhsa_group_segment_fixed_size 0
		.amdhsa_private_segment_fixed_size 0
		.amdhsa_kernarg_size 92
		.amdhsa_user_sgpr_count 6
		.amdhsa_user_sgpr_private_segment_buffer 1
		.amdhsa_user_sgpr_dispatch_ptr 0
		.amdhsa_user_sgpr_queue_ptr 0
		.amdhsa_user_sgpr_kernarg_segment_ptr 1
		.amdhsa_user_sgpr_dispatch_id 0
		.amdhsa_user_sgpr_flat_scratch_init 0
		.amdhsa_user_sgpr_private_segment_size 0
		.amdhsa_uses_dynamic_stack 0
		.amdhsa_system_sgpr_private_segment_wavefront_offset 0
		.amdhsa_system_sgpr_workgroup_id_x 1
		.amdhsa_system_sgpr_workgroup_id_y 0
		.amdhsa_system_sgpr_workgroup_id_z 0
		.amdhsa_system_sgpr_workgroup_info 0
		.amdhsa_system_vgpr_workitem_id 0
		.amdhsa_next_free_vgpr 24
		.amdhsa_next_free_sgpr 42
		.amdhsa_reserve_vcc 1
		.amdhsa_reserve_flat_scratch 0
		.amdhsa_float_round_mode_32 0
		.amdhsa_float_round_mode_16_64 0
		.amdhsa_float_denorm_mode_32 3
		.amdhsa_float_denorm_mode_16_64 3
		.amdhsa_dx10_clamp 1
		.amdhsa_ieee_mode 1
		.amdhsa_fp16_overflow 0
		.amdhsa_exception_fp_ieee_invalid_op 0
		.amdhsa_exception_fp_denorm_src 0
		.amdhsa_exception_fp_ieee_div_zero 0
		.amdhsa_exception_fp_ieee_overflow 0
		.amdhsa_exception_fp_ieee_underflow 0
		.amdhsa_exception_fp_ieee_inexact 0
		.amdhsa_exception_int_div_zero 0
	.end_amdhsa_kernel
	.section	.text._ZN9rocsparseL24bsrsm_upper_large_kernelILj512ELj16ELb0E21rocsparse_complex_numIdEEEviiPKiS4_PKT2_iPS5_iPiS4_S9_21rocsparse_index_base_20rocsparse_diag_type_20rocsparse_direction_,"axG",@progbits,_ZN9rocsparseL24bsrsm_upper_large_kernelILj512ELj16ELb0E21rocsparse_complex_numIdEEEviiPKiS4_PKT2_iPS5_iPiS4_S9_21rocsparse_index_base_20rocsparse_diag_type_20rocsparse_direction_,comdat
.Lfunc_end60:
	.size	_ZN9rocsparseL24bsrsm_upper_large_kernelILj512ELj16ELb0E21rocsparse_complex_numIdEEEviiPKiS4_PKT2_iPS5_iPiS4_S9_21rocsparse_index_base_20rocsparse_diag_type_20rocsparse_direction_, .Lfunc_end60-_ZN9rocsparseL24bsrsm_upper_large_kernelILj512ELj16ELb0E21rocsparse_complex_numIdEEEviiPKiS4_PKT2_iPS5_iPiS4_S9_21rocsparse_index_base_20rocsparse_diag_type_20rocsparse_direction_
                                        ; -- End function
	.set _ZN9rocsparseL24bsrsm_upper_large_kernelILj512ELj16ELb0E21rocsparse_complex_numIdEEEviiPKiS4_PKT2_iPS5_iPiS4_S9_21rocsparse_index_base_20rocsparse_diag_type_20rocsparse_direction_.num_vgpr, 24
	.set _ZN9rocsparseL24bsrsm_upper_large_kernelILj512ELj16ELb0E21rocsparse_complex_numIdEEEviiPKiS4_PKT2_iPS5_iPiS4_S9_21rocsparse_index_base_20rocsparse_diag_type_20rocsparse_direction_.num_agpr, 0
	.set _ZN9rocsparseL24bsrsm_upper_large_kernelILj512ELj16ELb0E21rocsparse_complex_numIdEEEviiPKiS4_PKT2_iPS5_iPiS4_S9_21rocsparse_index_base_20rocsparse_diag_type_20rocsparse_direction_.numbered_sgpr, 42
	.set _ZN9rocsparseL24bsrsm_upper_large_kernelILj512ELj16ELb0E21rocsparse_complex_numIdEEEviiPKiS4_PKT2_iPS5_iPiS4_S9_21rocsparse_index_base_20rocsparse_diag_type_20rocsparse_direction_.num_named_barrier, 0
	.set _ZN9rocsparseL24bsrsm_upper_large_kernelILj512ELj16ELb0E21rocsparse_complex_numIdEEEviiPKiS4_PKT2_iPS5_iPiS4_S9_21rocsparse_index_base_20rocsparse_diag_type_20rocsparse_direction_.private_seg_size, 0
	.set _ZN9rocsparseL24bsrsm_upper_large_kernelILj512ELj16ELb0E21rocsparse_complex_numIdEEEviiPKiS4_PKT2_iPS5_iPiS4_S9_21rocsparse_index_base_20rocsparse_diag_type_20rocsparse_direction_.uses_vcc, 1
	.set _ZN9rocsparseL24bsrsm_upper_large_kernelILj512ELj16ELb0E21rocsparse_complex_numIdEEEviiPKiS4_PKT2_iPS5_iPiS4_S9_21rocsparse_index_base_20rocsparse_diag_type_20rocsparse_direction_.uses_flat_scratch, 0
	.set _ZN9rocsparseL24bsrsm_upper_large_kernelILj512ELj16ELb0E21rocsparse_complex_numIdEEEviiPKiS4_PKT2_iPS5_iPiS4_S9_21rocsparse_index_base_20rocsparse_diag_type_20rocsparse_direction_.has_dyn_sized_stack, 0
	.set _ZN9rocsparseL24bsrsm_upper_large_kernelILj512ELj16ELb0E21rocsparse_complex_numIdEEEviiPKiS4_PKT2_iPS5_iPiS4_S9_21rocsparse_index_base_20rocsparse_diag_type_20rocsparse_direction_.has_recursion, 0
	.set _ZN9rocsparseL24bsrsm_upper_large_kernelILj512ELj16ELb0E21rocsparse_complex_numIdEEEviiPKiS4_PKT2_iPS5_iPiS4_S9_21rocsparse_index_base_20rocsparse_diag_type_20rocsparse_direction_.has_indirect_call, 0
	.section	.AMDGPU.csdata,"",@progbits
; Kernel info:
; codeLenInByte = 1688
; TotalNumSgprs: 46
; NumVgprs: 24
; ScratchSize: 0
; MemoryBound: 0
; FloatMode: 240
; IeeeMode: 1
; LDSByteSize: 0 bytes/workgroup (compile time only)
; SGPRBlocks: 5
; VGPRBlocks: 5
; NumSGPRsForWavesPerEU: 46
; NumVGPRsForWavesPerEU: 24
; Occupancy: 10
; WaveLimiterHint : 1
; COMPUTE_PGM_RSRC2:SCRATCH_EN: 0
; COMPUTE_PGM_RSRC2:USER_SGPR: 6
; COMPUTE_PGM_RSRC2:TRAP_HANDLER: 0
; COMPUTE_PGM_RSRC2:TGID_X_EN: 1
; COMPUTE_PGM_RSRC2:TGID_Y_EN: 0
; COMPUTE_PGM_RSRC2:TGID_Z_EN: 0
; COMPUTE_PGM_RSRC2:TIDIG_COMP_CNT: 0
	.section	.text._ZN9rocsparseL24bsrsm_lower_large_kernelILj512ELj16ELb0E21rocsparse_complex_numIdEEEviiPKiS4_PKT2_iPS5_iPiS4_S9_21rocsparse_index_base_20rocsparse_diag_type_20rocsparse_direction_,"axG",@progbits,_ZN9rocsparseL24bsrsm_lower_large_kernelILj512ELj16ELb0E21rocsparse_complex_numIdEEEviiPKiS4_PKT2_iPS5_iPiS4_S9_21rocsparse_index_base_20rocsparse_diag_type_20rocsparse_direction_,comdat
	.globl	_ZN9rocsparseL24bsrsm_lower_large_kernelILj512ELj16ELb0E21rocsparse_complex_numIdEEEviiPKiS4_PKT2_iPS5_iPiS4_S9_21rocsparse_index_base_20rocsparse_diag_type_20rocsparse_direction_ ; -- Begin function _ZN9rocsparseL24bsrsm_lower_large_kernelILj512ELj16ELb0E21rocsparse_complex_numIdEEEviiPKiS4_PKT2_iPS5_iPiS4_S9_21rocsparse_index_base_20rocsparse_diag_type_20rocsparse_direction_
	.p2align	8
	.type	_ZN9rocsparseL24bsrsm_lower_large_kernelILj512ELj16ELb0E21rocsparse_complex_numIdEEEviiPKiS4_PKT2_iPS5_iPiS4_S9_21rocsparse_index_base_20rocsparse_diag_type_20rocsparse_direction_,@function
_ZN9rocsparseL24bsrsm_lower_large_kernelILj512ELj16ELb0E21rocsparse_complex_numIdEEEviiPKiS4_PKT2_iPS5_iPiS4_S9_21rocsparse_index_base_20rocsparse_diag_type_20rocsparse_direction_: ; @_ZN9rocsparseL24bsrsm_lower_large_kernelILj512ELj16ELb0E21rocsparse_complex_numIdEEEviiPKiS4_PKT2_iPS5_iPiS4_S9_21rocsparse_index_base_20rocsparse_diag_type_20rocsparse_direction_
; %bb.0:
	s_load_dwordx2 s[24:25], s[4:5], 0x0
	s_load_dwordx4 s[16:19], s[4:5], 0x8
	s_load_dwordx4 s[8:11], s[4:5], 0x38
	s_load_dwordx2 s[20:21], s[4:5], 0x48
	v_lshrrev_b32_e32 v10, 5, v0
	v_and_b32_e32 v8, 31, v0
	s_waitcnt lgkmcnt(0)
	v_cvt_f32_u32_e32 v1, s24
	s_sub_i32 s0, 0, s24
	v_rcp_iflag_f32_e32 v1, v1
	v_mul_f32_e32 v1, 0x4f7ffffe, v1
	v_cvt_u32_f32_e32 v1, v1
	v_readfirstlane_b32 s1, v1
	s_mul_i32 s0, s0, s1
	s_mul_hi_u32 s0, s1, s0
	s_add_i32 s1, s1, s0
	s_mul_hi_u32 s0, s6, s1
	s_mul_i32 s1, s0, s24
	s_sub_i32 s1, s6, s1
	s_add_i32 s2, s0, 1
	s_sub_i32 s3, s1, s24
	s_cmp_ge_u32 s1, s24
	s_cselect_b32 s0, s2, s0
	s_cselect_b32 s1, s3, s1
	s_add_i32 s2, s0, 1
	s_cmp_ge_u32 s1, s24
	s_cselect_b32 s26, s2, s0
	s_mul_i32 s33, s26, s24
	s_sub_i32 s0, s6, s33
	s_ashr_i32 s1, s0, 31
	s_lshl_b64 s[0:1], s[0:1], 2
	s_add_u32 s0, s10, s0
	s_addc_u32 s1, s11, s1
	s_load_dword s6, s[0:1], 0x0
	s_load_dwordx2 s[10:11], s[4:5], 0x18
	s_load_dword s34, s[4:5], 0x20
	s_load_dwordx2 s[22:23], s[4:5], 0x28
	s_load_dword s35, s[4:5], 0x30
	s_load_dwordx4 s[12:15], s[4:5], 0x50
	s_waitcnt lgkmcnt(0)
	s_ashr_i32 s7, s6, 31
	s_lshl_b64 s[0:1], s[6:7], 2
	s_add_u32 s0, s16, s0
	s_addc_u32 s1, s17, s1
	s_load_dwordx2 s[2:3], s[0:1], 0x0
	s_lshl_b32 s36, s26, 4
	v_or_b32_e32 v9, s36, v10
	s_mul_i32 s7, s6, s34
	v_cmp_gt_i32_e32 vcc, s25, v9
	s_waitcnt lgkmcnt(0)
	s_sub_i32 s26, s2, s12
	s_cmp_ge_i32 s2, s3
	s_mul_i32 s37, s34, s34
	v_cmp_eq_u32_e64 s[0:1], 0, v0
	s_cbranch_scc1 .LBB61_17
; %bb.1:
	s_mul_i32 s16, s34, s26
	v_add_u32_e32 v1, s16, v8
	v_mul_lo_u32 v11, s34, v1
	s_sub_i32 s15, s3, s12
	v_cmp_gt_i32_e64 s[2:3], s34, v8
	s_cmp_lg_u32 s14, 0
	s_cselect_b64 s[4:5], -1, 0
	s_and_b64 s[2:3], vcc, s[2:3]
	s_mul_i32 s38, s35, s34
	s_lshl_b32 s39, s34, 5
	v_mov_b32_e32 v12, 0
	s_branch .LBB61_3
.LBB61_2:                               ;   in Loop: Header=BB61_3 Depth=1
                                        ; implicit-def: $vgpr11
	s_and_b64 vcc, exec, s[16:17]
	s_cbranch_vccnz .LBB61_18
.LBB61_3:                               ; =>This Loop Header: Depth=1
                                        ;     Child Loop BB61_6 Depth 2
                                        ;     Child Loop BB61_10 Depth 2
                                        ;       Child Loop BB61_12 Depth 3
	s_ashr_i32 s27, s26, 31
	s_lshl_b64 s[16:17], s[26:27], 2
	s_add_u32 s16, s18, s16
	s_addc_u32 s17, s19, s17
	global_load_dword v1, v12, s[16:17]
	s_waitcnt vmcnt(0)
	v_readfirstlane_b32 s16, v1
	s_sub_i32 s27, s16, s12
	s_cmp_ge_i32 s27, s6
	s_mov_b64 s[16:17], -1
	s_cbranch_scc1 .LBB61_2
; %bb.4:                                ;   in Loop: Header=BB61_3 Depth=1
	s_and_saveexec_b64 s[16:17], s[0:1]
	s_cbranch_execz .LBB61_7
; %bb.5:                                ;   in Loop: Header=BB61_3 Depth=1
	s_add_i32 s28, s27, s33
	s_ashr_i32 s29, s28, 31
	s_lshl_b64 s[28:29], s[28:29], 2
	s_add_u32 s28, s8, s28
	s_addc_u32 s29, s9, s29
	global_load_dword v1, v12, s[28:29] glc
	s_waitcnt vmcnt(0)
	v_cmp_ne_u32_e32 vcc, 0, v1
	s_cbranch_vccnz .LBB61_7
.LBB61_6:                               ;   Parent Loop BB61_3 Depth=1
                                        ; =>  This Inner Loop Header: Depth=2
	global_load_dword v1, v12, s[28:29] glc
	s_waitcnt vmcnt(0)
	v_cmp_eq_u32_e32 vcc, 0, v1
	s_cbranch_vccnz .LBB61_6
.LBB61_7:                               ;   in Loop: Header=BB61_3 Depth=1
	s_or_b64 exec, exec, s[16:17]
	buffer_wbinvl1_vol
	s_barrier
	s_and_saveexec_b64 s[16:17], s[2:3]
	s_cbranch_execz .LBB61_16
; %bb.8:                                ;   in Loop: Header=BB61_3 Depth=1
	s_mul_i32 s28, s38, s27
	s_mul_i32 s40, s26, s34
	v_add_u32_e32 v13, s28, v9
	s_mov_b64 s[28:29], 0
	v_mov_b32_e32 v14, v11
	v_mov_b32_e32 v15, v8
	s_branch .LBB61_10
.LBB61_9:                               ;   in Loop: Header=BB61_10 Depth=2
	v_add_u32_e32 v5, s7, v15
	v_mad_u64_u32 v[5:6], s[30:31], v5, s35, v[9:10]
	v_mov_b32_e32 v7, s23
	v_add_u32_e32 v15, 32, v15
	v_ashrrev_i32_e32 v6, 31, v5
	v_lshlrev_b64 v[5:6], 4, v[5:6]
	v_add_u32_e32 v14, s39, v14
	v_add_co_u32_e32 v20, vcc, s22, v5
	v_addc_co_u32_e32 v21, vcc, v7, v6, vcc
	global_load_dwordx4 v[16:19], v[20:21], off
	v_cmp_le_i32_e32 vcc, s34, v15
	s_or_b64 s[28:29], vcc, s[28:29]
	s_waitcnt vmcnt(0)
	v_add_f64 v[3:4], v[16:17], -v[3:4]
	v_add_f64 v[5:6], v[18:19], -v[1:2]
	global_store_dwordx4 v[20:21], v[3:6], off
	s_andn2_b64 exec, exec, s[28:29]
	s_cbranch_execz .LBB61_16
.LBB61_10:                              ;   Parent Loop BB61_3 Depth=1
                                        ; =>  This Loop Header: Depth=2
                                        ;       Child Loop BB61_12 Depth 3
	v_mov_b32_e32 v1, 0
	v_mov_b32_e32 v3, 0
	;; [unrolled: 1-line block ×3, first 2 shown]
	s_mov_b32 s41, 0
	v_mov_b32_e32 v4, 0
	v_mov_b32_e32 v5, v13
	s_branch .LBB61_12
.LBB61_11:                              ;   in Loop: Header=BB61_12 Depth=3
	v_ashrrev_i32_e32 v7, 31, v6
	v_lshlrev_b64 v[6:7], 4, v[6:7]
	v_mov_b32_e32 v16, s11
	v_add_co_u32_e32 v6, vcc, s10, v6
	v_addc_co_u32_e32 v7, vcc, v16, v7, vcc
	global_load_dwordx4 v[16:19], v[6:7], off
	v_ashrrev_i32_e32 v6, 31, v5
	v_lshlrev_b64 v[6:7], 4, v[5:6]
	v_mov_b32_e32 v20, s23
	v_add_co_u32_e32 v6, vcc, s22, v6
	v_addc_co_u32_e32 v7, vcc, v20, v7, vcc
	global_load_dwordx4 v[20:23], v[6:7], off
	s_add_i32 s41, s41, 1
	s_cmp_eq_u32 s34, s41
	v_add_u32_e32 v5, s35, v5
	s_waitcnt vmcnt(0)
	v_fma_f64 v[3:4], v[16:17], v[20:21], v[3:4]
	v_fma_f64 v[1:2], v[18:19], v[20:21], v[1:2]
	v_fma_f64 v[3:4], -v[18:19], v[22:23], v[3:4]
	v_fma_f64 v[1:2], v[16:17], v[22:23], v[1:2]
	s_cbranch_scc1 .LBB61_9
.LBB61_12:                              ;   Parent Loop BB61_3 Depth=1
                                        ;     Parent Loop BB61_10 Depth=2
                                        ; =>    This Inner Loop Header: Depth=3
	s_and_b64 vcc, exec, s[4:5]
	s_cbranch_vccz .LBB61_14
; %bb.13:                               ;   in Loop: Header=BB61_12 Depth=3
	s_add_i32 s30, s41, s40
	s_mul_i32 s30, s30, s34
	v_add_u32_e32 v6, s30, v15
	s_cbranch_execnz .LBB61_11
	s_branch .LBB61_15
.LBB61_14:                              ;   in Loop: Header=BB61_12 Depth=3
                                        ; implicit-def: $vgpr6
.LBB61_15:                              ;   in Loop: Header=BB61_12 Depth=3
	v_add_u32_e32 v6, s41, v14
	s_branch .LBB61_11
.LBB61_16:                              ;   in Loop: Header=BB61_3 Depth=1
	s_or_b64 exec, exec, s[16:17]
	s_add_i32 s26, s26, 1
	s_cmp_ge_i32 s26, s15
	v_add_u32_e32 v11, s37, v11
	s_cselect_b64 s[16:17], -1, 0
	s_and_b64 vcc, exec, s[16:17]
	s_cbranch_vccz .LBB61_3
	s_branch .LBB61_18
.LBB61_17:
	s_mov_b32 s27, s24
.LBB61_18:
	s_cmp_lt_i32 s6, s24
	s_cselect_b64 s[4:5], -1, 0
	s_cmp_eq_u32 s6, s27
	s_cselect_b64 s[0:1], -1, 0
	v_cmp_gt_i32_e32 vcc, s25, v9
	s_and_b64 s[0:1], vcc, s[0:1]
	s_cmp_gt_i32 s34, 0
	s_cselect_b64 s[2:3], -1, 0
	s_and_b64 s[0:1], s[0:1], s[2:3]
	s_mov_b32 s28, 0
	s_and_b64 s[2:3], s[0:1], s[4:5]
	s_mov_b64 s[0:1], 0
	s_and_saveexec_b64 s[16:17], s[2:3]
	s_cbranch_execz .LBB61_34
; %bb.19:
	v_add_u32_e32 v1, s7, v8
	v_mul_lo_u32 v1, s35, v1
	s_cmp_eq_u32 s13, 0
	s_cselect_b64 s[0:1], -1, 0
	s_cmp_lg_u32 s14, 0
	v_add_u32_e32 v1, s35, v1
	v_add3_u32 v13, v10, v1, s36
	v_cndmask_b32_e64 v1, 0, 1, s[0:1]
	s_cselect_b64 s[14:15], -1, 0
	v_add_u32_e32 v12, 1, v8
	s_mul_i32 s13, s26, s34
	s_lshl_b32 s29, s35, 5
	s_mul_i32 s30, s26, s37
	s_add_i32 s31, s34, 1
	s_mov_b64 s[18:19], 0
	v_cmp_ne_u32_e64 s[0:1], 1, v1
	v_mov_b32_e32 v14, 0
	v_mov_b32_e32 v15, s23
	s_branch .LBB61_21
.LBB61_20:                              ;   in Loop: Header=BB61_21 Depth=1
	s_or_b64 exec, exec, s[2:3]
	s_add_i32 s28, s28, 1
	s_add_i32 s30, s30, s31
	s_cmp_eq_u32 s28, s34
	v_add_u32_e32 v13, s35, v13
	s_cbranch_scc1 .LBB61_33
.LBB61_21:                              ; =>This Loop Header: Depth=1
                                        ;     Child Loop BB61_29 Depth 2
	s_and_b64 vcc, exec, s[0:1]
	s_cbranch_vccz .LBB61_23
; %bb.22:                               ;   in Loop: Header=BB61_21 Depth=1
	v_mov_b32_e32 v7, 0
	v_mov_b32_e32 v5, 0
	;; [unrolled: 1-line block ×4, first 2 shown]
	s_branch .LBB61_24
.LBB61_23:                              ;   in Loop: Header=BB61_21 Depth=1
	s_add_i32 s2, s28, s13
	s_mul_i32 s2, s2, s34
	s_add_i32 s2, s2, s28
	s_ashr_i32 s3, s2, 31
	s_lshl_b64 s[2:3], s[2:3], 4
	s_add_u32 s2, s10, s2
	s_addc_u32 s3, s11, s3
	global_load_dwordx4 v[5:8], v14, s[2:3]
.LBB61_24:                              ;   in Loop: Header=BB61_21 Depth=1
	s_add_i32 s2, s28, s7
	s_mul_i32 s2, s2, s35
	s_waitcnt vmcnt(0)
	v_add_u32_e32 v1, s2, v9
	v_ashrrev_i32_e32 v2, 31, v1
	v_lshlrev_b64 v[1:2], 4, v[1:2]
	s_waitcnt vmcnt(0)
	v_cmp_eq_f64_e64 s[2:3], 0, v[7:8]
	v_add_co_u32_e32 v10, vcc, s22, v1
	v_addc_co_u32_e32 v11, vcc, v15, v2, vcc
	global_load_dwordx4 v[1:4], v[10:11], off
	v_cmp_eq_f64_e32 vcc, 0, v[5:6]
	s_and_b64 s[2:3], vcc, s[2:3]
	s_and_b64 vcc, exec, s[2:3]
	s_cbranch_vccnz .LBB61_26
; %bb.25:                               ;   in Loop: Header=BB61_21 Depth=1
	v_mul_f64 v[16:17], v[7:8], v[7:8]
	v_fma_f64 v[16:17], v[5:6], v[5:6], v[16:17]
	v_div_scale_f64 v[18:19], s[2:3], v[16:17], v[16:17], 1.0
	v_rcp_f64_e32 v[20:21], v[18:19]
	v_fma_f64 v[22:23], -v[18:19], v[20:21], 1.0
	v_fma_f64 v[20:21], v[20:21], v[22:23], v[20:21]
	v_div_scale_f64 v[22:23], vcc, 1.0, v[16:17], 1.0
	v_fma_f64 v[24:25], -v[18:19], v[20:21], 1.0
	v_fma_f64 v[20:21], v[20:21], v[24:25], v[20:21]
	v_mul_f64 v[24:25], v[22:23], v[20:21]
	v_fma_f64 v[18:19], -v[18:19], v[24:25], v[22:23]
	v_div_fmas_f64 v[18:19], v[18:19], v[20:21], v[24:25]
	s_waitcnt vmcnt(0)
	v_mul_f64 v[20:21], v[7:8], v[3:4]
	v_mul_f64 v[7:8], v[7:8], -v[1:2]
	v_fma_f64 v[1:2], v[1:2], v[5:6], v[20:21]
	v_fma_f64 v[3:4], v[3:4], v[5:6], v[7:8]
	v_div_fixup_f64 v[16:17], v[18:19], v[16:17], 1.0
	v_mul_f64 v[1:2], v[16:17], v[1:2]
	v_mul_f64 v[3:4], v[16:17], v[3:4]
	global_store_dwordx4 v[10:11], v[1:4], off
	v_add_u32_e32 v8, s28, v12
	v_cmp_gt_i32_e32 vcc, s34, v8
	s_and_saveexec_b64 s[2:3], vcc
	s_cbranch_execz .LBB61_20
	s_branch .LBB61_27
.LBB61_26:                              ;   in Loop: Header=BB61_21 Depth=1
	s_mov_b64 s[18:19], -1
	v_add_u32_e32 v8, s28, v12
	v_cmp_gt_i32_e32 vcc, s34, v8
	s_and_saveexec_b64 s[2:3], vcc
	s_cbranch_execz .LBB61_20
.LBB61_27:                              ;   in Loop: Header=BB61_21 Depth=1
	s_mov_b64 s[24:25], 0
	v_mov_b32_e32 v5, v13
	v_mov_b32_e32 v10, v12
	s_branch .LBB61_29
.LBB61_28:                              ;   in Loop: Header=BB61_29 Depth=2
	v_ashrrev_i32_e32 v7, 31, v6
	v_lshlrev_b64 v[6:7], 4, v[6:7]
	v_mov_b32_e32 v11, s11
	v_add_co_u32_e32 v6, vcc, s10, v6
	v_addc_co_u32_e32 v7, vcc, v11, v7, vcc
	global_load_dwordx4 v[16:19], v[6:7], off
	v_ashrrev_i32_e32 v6, 31, v5
	v_lshlrev_b64 v[6:7], 4, v[5:6]
	v_mov_b32_e32 v11, s23
	v_add_co_u32_e32 v6, vcc, s22, v6
	v_addc_co_u32_e32 v7, vcc, v11, v7, vcc
	global_load_dwordx4 v[20:23], v[6:7], off
	v_add_u32_e32 v10, 32, v10
	v_add_u32_e32 v11, s28, v10
	v_cmp_le_i32_e32 vcc, s34, v11
	v_add_u32_e32 v8, 32, v8
	s_or_b64 s[24:25], vcc, s[24:25]
	v_add_u32_e32 v5, s29, v5
	s_waitcnt vmcnt(1)
	v_mul_f64 v[24:25], v[18:19], -v[3:4]
	v_mul_f64 v[18:19], v[1:2], v[18:19]
	v_fma_f64 v[24:25], v[1:2], v[16:17], v[24:25]
	v_fma_f64 v[18:19], v[3:4], v[16:17], v[18:19]
	s_waitcnt vmcnt(0)
	v_add_f64 v[16:17], v[20:21], -v[24:25]
	v_add_f64 v[18:19], v[22:23], -v[18:19]
	global_store_dwordx4 v[6:7], v[16:19], off
	s_andn2_b64 exec, exec, s[24:25]
	s_cbranch_execz .LBB61_20
.LBB61_29:                              ;   Parent Loop BB61_21 Depth=1
                                        ; =>  This Inner Loop Header: Depth=2
	s_and_b64 vcc, exec, s[14:15]
	s_cbranch_vccz .LBB61_31
; %bb.30:                               ;   in Loop: Header=BB61_29 Depth=2
	v_add_u32_e32 v6, s30, v10
	s_cbranch_execnz .LBB61_28
	s_branch .LBB61_32
.LBB61_31:                              ;   in Loop: Header=BB61_29 Depth=2
                                        ; implicit-def: $vgpr6
.LBB61_32:                              ;   in Loop: Header=BB61_29 Depth=2
	v_add_u32_e32 v6, s13, v8
	v_mul_lo_u32 v6, v6, s34
	v_add_u32_e32 v6, s28, v6
	s_branch .LBB61_28
.LBB61_33:
	s_and_b64 s[0:1], s[18:19], exec
.LBB61_34:
	s_or_b64 exec, exec, s[16:17]
	v_cmp_eq_u32_e32 vcc, 0, v0
	s_and_b64 s[2:3], vcc, s[4:5]
	s_waitcnt vmcnt(0)
	buffer_wbinvl1_vol
	s_barrier
	s_and_saveexec_b64 s[4:5], s[2:3]
	s_cbranch_execz .LBB61_38
; %bb.35:
	s_add_i32 s2, s6, s33
	s_ashr_i32 s3, s2, 31
	s_lshl_b64 s[2:3], s[2:3], 2
	s_add_u32 s2, s8, s2
	s_addc_u32 s3, s9, s3
	v_mov_b32_e32 v0, 0
	v_mov_b32_e32 v1, 1
	global_store_dword v0, v1, s[2:3]
	s_and_b64 exec, exec, s[0:1]
	s_cbranch_execz .LBB61_38
; %bb.36:
	v_mbcnt_lo_u32_b32 v0, exec_lo, 0
	v_mbcnt_hi_u32_b32 v0, exec_hi, v0
	v_cmp_eq_u32_e32 vcc, 0, v0
	s_and_b64 exec, exec, vcc
	s_cbranch_execz .LBB61_38
; %bb.37:
	s_add_i32 s0, s6, s12
	v_mov_b32_e32 v0, 0
	v_mov_b32_e32 v1, s0
	global_atomic_smin v0, v1, s[20:21]
.LBB61_38:
	s_endpgm
	.section	.rodata,"a",@progbits
	.p2align	6, 0x0
	.amdhsa_kernel _ZN9rocsparseL24bsrsm_lower_large_kernelILj512ELj16ELb0E21rocsparse_complex_numIdEEEviiPKiS4_PKT2_iPS5_iPiS4_S9_21rocsparse_index_base_20rocsparse_diag_type_20rocsparse_direction_
		.amdhsa_group_segment_fixed_size 0
		.amdhsa_private_segment_fixed_size 0
		.amdhsa_kernarg_size 92
		.amdhsa_user_sgpr_count 6
		.amdhsa_user_sgpr_private_segment_buffer 1
		.amdhsa_user_sgpr_dispatch_ptr 0
		.amdhsa_user_sgpr_queue_ptr 0
		.amdhsa_user_sgpr_kernarg_segment_ptr 1
		.amdhsa_user_sgpr_dispatch_id 0
		.amdhsa_user_sgpr_flat_scratch_init 0
		.amdhsa_user_sgpr_private_segment_size 0
		.amdhsa_uses_dynamic_stack 0
		.amdhsa_system_sgpr_private_segment_wavefront_offset 0
		.amdhsa_system_sgpr_workgroup_id_x 1
		.amdhsa_system_sgpr_workgroup_id_y 0
		.amdhsa_system_sgpr_workgroup_id_z 0
		.amdhsa_system_sgpr_workgroup_info 0
		.amdhsa_system_vgpr_workitem_id 0
		.amdhsa_next_free_vgpr 26
		.amdhsa_next_free_sgpr 42
		.amdhsa_reserve_vcc 1
		.amdhsa_reserve_flat_scratch 0
		.amdhsa_float_round_mode_32 0
		.amdhsa_float_round_mode_16_64 0
		.amdhsa_float_denorm_mode_32 3
		.amdhsa_float_denorm_mode_16_64 3
		.amdhsa_dx10_clamp 1
		.amdhsa_ieee_mode 1
		.amdhsa_fp16_overflow 0
		.amdhsa_exception_fp_ieee_invalid_op 0
		.amdhsa_exception_fp_denorm_src 0
		.amdhsa_exception_fp_ieee_div_zero 0
		.amdhsa_exception_fp_ieee_overflow 0
		.amdhsa_exception_fp_ieee_underflow 0
		.amdhsa_exception_fp_ieee_inexact 0
		.amdhsa_exception_int_div_zero 0
	.end_amdhsa_kernel
	.section	.text._ZN9rocsparseL24bsrsm_lower_large_kernelILj512ELj16ELb0E21rocsparse_complex_numIdEEEviiPKiS4_PKT2_iPS5_iPiS4_S9_21rocsparse_index_base_20rocsparse_diag_type_20rocsparse_direction_,"axG",@progbits,_ZN9rocsparseL24bsrsm_lower_large_kernelILj512ELj16ELb0E21rocsparse_complex_numIdEEEviiPKiS4_PKT2_iPS5_iPiS4_S9_21rocsparse_index_base_20rocsparse_diag_type_20rocsparse_direction_,comdat
.Lfunc_end61:
	.size	_ZN9rocsparseL24bsrsm_lower_large_kernelILj512ELj16ELb0E21rocsparse_complex_numIdEEEviiPKiS4_PKT2_iPS5_iPiS4_S9_21rocsparse_index_base_20rocsparse_diag_type_20rocsparse_direction_, .Lfunc_end61-_ZN9rocsparseL24bsrsm_lower_large_kernelILj512ELj16ELb0E21rocsparse_complex_numIdEEEviiPKiS4_PKT2_iPS5_iPiS4_S9_21rocsparse_index_base_20rocsparse_diag_type_20rocsparse_direction_
                                        ; -- End function
	.set _ZN9rocsparseL24bsrsm_lower_large_kernelILj512ELj16ELb0E21rocsparse_complex_numIdEEEviiPKiS4_PKT2_iPS5_iPiS4_S9_21rocsparse_index_base_20rocsparse_diag_type_20rocsparse_direction_.num_vgpr, 26
	.set _ZN9rocsparseL24bsrsm_lower_large_kernelILj512ELj16ELb0E21rocsparse_complex_numIdEEEviiPKiS4_PKT2_iPS5_iPiS4_S9_21rocsparse_index_base_20rocsparse_diag_type_20rocsparse_direction_.num_agpr, 0
	.set _ZN9rocsparseL24bsrsm_lower_large_kernelILj512ELj16ELb0E21rocsparse_complex_numIdEEEviiPKiS4_PKT2_iPS5_iPiS4_S9_21rocsparse_index_base_20rocsparse_diag_type_20rocsparse_direction_.numbered_sgpr, 42
	.set _ZN9rocsparseL24bsrsm_lower_large_kernelILj512ELj16ELb0E21rocsparse_complex_numIdEEEviiPKiS4_PKT2_iPS5_iPiS4_S9_21rocsparse_index_base_20rocsparse_diag_type_20rocsparse_direction_.num_named_barrier, 0
	.set _ZN9rocsparseL24bsrsm_lower_large_kernelILj512ELj16ELb0E21rocsparse_complex_numIdEEEviiPKiS4_PKT2_iPS5_iPiS4_S9_21rocsparse_index_base_20rocsparse_diag_type_20rocsparse_direction_.private_seg_size, 0
	.set _ZN9rocsparseL24bsrsm_lower_large_kernelILj512ELj16ELb0E21rocsparse_complex_numIdEEEviiPKiS4_PKT2_iPS5_iPiS4_S9_21rocsparse_index_base_20rocsparse_diag_type_20rocsparse_direction_.uses_vcc, 1
	.set _ZN9rocsparseL24bsrsm_lower_large_kernelILj512ELj16ELb0E21rocsparse_complex_numIdEEEviiPKiS4_PKT2_iPS5_iPiS4_S9_21rocsparse_index_base_20rocsparse_diag_type_20rocsparse_direction_.uses_flat_scratch, 0
	.set _ZN9rocsparseL24bsrsm_lower_large_kernelILj512ELj16ELb0E21rocsparse_complex_numIdEEEviiPKiS4_PKT2_iPS5_iPiS4_S9_21rocsparse_index_base_20rocsparse_diag_type_20rocsparse_direction_.has_dyn_sized_stack, 0
	.set _ZN9rocsparseL24bsrsm_lower_large_kernelILj512ELj16ELb0E21rocsparse_complex_numIdEEEviiPKiS4_PKT2_iPS5_iPiS4_S9_21rocsparse_index_base_20rocsparse_diag_type_20rocsparse_direction_.has_recursion, 0
	.set _ZN9rocsparseL24bsrsm_lower_large_kernelILj512ELj16ELb0E21rocsparse_complex_numIdEEEviiPKiS4_PKT2_iPS5_iPiS4_S9_21rocsparse_index_base_20rocsparse_diag_type_20rocsparse_direction_.has_indirect_call, 0
	.section	.AMDGPU.csdata,"",@progbits
; Kernel info:
; codeLenInByte = 1680
; TotalNumSgprs: 46
; NumVgprs: 26
; ScratchSize: 0
; MemoryBound: 0
; FloatMode: 240
; IeeeMode: 1
; LDSByteSize: 0 bytes/workgroup (compile time only)
; SGPRBlocks: 5
; VGPRBlocks: 6
; NumSGPRsForWavesPerEU: 46
; NumVGPRsForWavesPerEU: 26
; Occupancy: 9
; WaveLimiterHint : 1
; COMPUTE_PGM_RSRC2:SCRATCH_EN: 0
; COMPUTE_PGM_RSRC2:USER_SGPR: 6
; COMPUTE_PGM_RSRC2:TRAP_HANDLER: 0
; COMPUTE_PGM_RSRC2:TGID_X_EN: 1
; COMPUTE_PGM_RSRC2:TGID_Y_EN: 0
; COMPUTE_PGM_RSRC2:TGID_Z_EN: 0
; COMPUTE_PGM_RSRC2:TIDIG_COMP_CNT: 0
	.section	.text._ZN9rocsparseL24bsrsm_upper_large_kernelILj1024ELj16ELb0E21rocsparse_complex_numIdEEEviiPKiS4_PKT2_iPS5_iPiS4_S9_21rocsparse_index_base_20rocsparse_diag_type_20rocsparse_direction_,"axG",@progbits,_ZN9rocsparseL24bsrsm_upper_large_kernelILj1024ELj16ELb0E21rocsparse_complex_numIdEEEviiPKiS4_PKT2_iPS5_iPiS4_S9_21rocsparse_index_base_20rocsparse_diag_type_20rocsparse_direction_,comdat
	.globl	_ZN9rocsparseL24bsrsm_upper_large_kernelILj1024ELj16ELb0E21rocsparse_complex_numIdEEEviiPKiS4_PKT2_iPS5_iPiS4_S9_21rocsparse_index_base_20rocsparse_diag_type_20rocsparse_direction_ ; -- Begin function _ZN9rocsparseL24bsrsm_upper_large_kernelILj1024ELj16ELb0E21rocsparse_complex_numIdEEEviiPKiS4_PKT2_iPS5_iPiS4_S9_21rocsparse_index_base_20rocsparse_diag_type_20rocsparse_direction_
	.p2align	8
	.type	_ZN9rocsparseL24bsrsm_upper_large_kernelILj1024ELj16ELb0E21rocsparse_complex_numIdEEEviiPKiS4_PKT2_iPS5_iPiS4_S9_21rocsparse_index_base_20rocsparse_diag_type_20rocsparse_direction_,@function
_ZN9rocsparseL24bsrsm_upper_large_kernelILj1024ELj16ELb0E21rocsparse_complex_numIdEEEviiPKiS4_PKT2_iPS5_iPiS4_S9_21rocsparse_index_base_20rocsparse_diag_type_20rocsparse_direction_: ; @_ZN9rocsparseL24bsrsm_upper_large_kernelILj1024ELj16ELb0E21rocsparse_complex_numIdEEEviiPKiS4_PKT2_iPS5_iPiS4_S9_21rocsparse_index_base_20rocsparse_diag_type_20rocsparse_direction_
; %bb.0:
	s_load_dwordx2 s[24:25], s[4:5], 0x0
	s_load_dwordx4 s[16:19], s[4:5], 0x8
	s_load_dwordx4 s[8:11], s[4:5], 0x38
	s_load_dwordx2 s[20:21], s[4:5], 0x48
	v_lshrrev_b32_e32 v8, 6, v0
	v_and_b32_e32 v12, 63, v0
	s_waitcnt lgkmcnt(0)
	v_cvt_f32_u32_e32 v1, s24
	s_sub_i32 s0, 0, s24
	v_rcp_iflag_f32_e32 v1, v1
	v_mul_f32_e32 v1, 0x4f7ffffe, v1
	v_cvt_u32_f32_e32 v1, v1
	v_readfirstlane_b32 s1, v1
	s_mul_i32 s0, s0, s1
	s_mul_hi_u32 s0, s1, s0
	s_add_i32 s1, s1, s0
	s_mul_hi_u32 s0, s6, s1
	s_mul_i32 s1, s0, s24
	s_sub_i32 s1, s6, s1
	s_add_i32 s2, s0, 1
	s_sub_i32 s3, s1, s24
	s_cmp_ge_u32 s1, s24
	s_cselect_b32 s0, s2, s0
	s_cselect_b32 s1, s3, s1
	s_add_i32 s2, s0, 1
	s_cmp_ge_u32 s1, s24
	s_cselect_b32 s26, s2, s0
	s_mul_i32 s33, s26, s24
	s_sub_i32 s0, s6, s33
	s_ashr_i32 s1, s0, 31
	s_lshl_b64 s[0:1], s[0:1], 2
	s_add_u32 s0, s10, s0
	s_addc_u32 s1, s11, s1
	s_load_dword s6, s[0:1], 0x0
	s_load_dwordx2 s[10:11], s[4:5], 0x18
	s_load_dword s34, s[4:5], 0x20
	s_load_dwordx2 s[22:23], s[4:5], 0x28
	s_load_dword s35, s[4:5], 0x30
	s_load_dwordx4 s[12:15], s[4:5], 0x50
	s_waitcnt lgkmcnt(0)
	s_ashr_i32 s7, s6, 31
	s_lshl_b64 s[0:1], s[6:7], 2
	s_add_u32 s0, s16, s0
	s_addc_u32 s1, s17, s1
	s_load_dwordx2 s[2:3], s[0:1], 0x0
	s_lshl_b32 s36, s26, 4
	s_not_b32 s0, s12
	v_or_b32_e32 v9, s36, v8
	v_cmp_gt_i32_e32 vcc, s25, v9
	s_waitcnt lgkmcnt(0)
	s_sub_i32 s15, s2, s12
	s_add_i32 s4, s3, s0
	s_cmp_lt_i32 s4, s15
	s_mul_i32 s7, s6, s34
	v_cmp_eq_u32_e64 s[0:1], 0, v0
	s_cbranch_scc1 .LBB62_17
; %bb.1:
	s_mul_i32 s5, s34, s4
	v_add_u32_e32 v1, s5, v12
	v_mul_lo_u32 v11, s34, v1
	v_cmp_gt_i32_e64 s[2:3], s34, v12
	s_cmp_lg_u32 s14, 0
	s_cselect_b64 s[16:17], -1, 0
	s_and_b64 s[2:3], vcc, s[2:3]
	v_add_u32_e32 v10, s36, v8
	s_mul_i32 s37, s35, s34
	s_mul_i32 s38, s34, s34
	s_lshl_b32 s39, s34, 6
	v_mov_b32_e32 v13, 0
	s_branch .LBB62_3
.LBB62_2:                               ;   in Loop: Header=BB62_3 Depth=1
                                        ; implicit-def: $vgpr11
	s_and_b64 vcc, exec, s[26:27]
	s_cbranch_vccnz .LBB62_18
.LBB62_3:                               ; =>This Loop Header: Depth=1
                                        ;     Child Loop BB62_6 Depth 2
                                        ;     Child Loop BB62_10 Depth 2
                                        ;       Child Loop BB62_12 Depth 3
	s_ashr_i32 s5, s4, 31
	s_lshl_b64 s[26:27], s[4:5], 2
	s_add_u32 s26, s18, s26
	s_addc_u32 s27, s19, s27
	global_load_dword v1, v13, s[26:27]
	s_mov_b64 s[26:27], -1
	s_waitcnt vmcnt(0)
	v_readfirstlane_b32 s5, v1
	s_sub_i32 s5, s5, s12
	s_cmp_le_i32 s5, s6
	s_cbranch_scc1 .LBB62_2
; %bb.4:                                ;   in Loop: Header=BB62_3 Depth=1
	s_and_saveexec_b64 s[26:27], s[0:1]
	s_cbranch_execz .LBB62_7
; %bb.5:                                ;   in Loop: Header=BB62_3 Depth=1
	s_add_i32 s28, s5, s33
	s_ashr_i32 s29, s28, 31
	s_lshl_b64 s[28:29], s[28:29], 2
	s_add_u32 s28, s8, s28
	s_addc_u32 s29, s9, s29
	global_load_dword v1, v13, s[28:29] glc
	s_waitcnt vmcnt(0)
	v_cmp_ne_u32_e32 vcc, 0, v1
	s_cbranch_vccnz .LBB62_7
.LBB62_6:                               ;   Parent Loop BB62_3 Depth=1
                                        ; =>  This Inner Loop Header: Depth=2
	global_load_dword v1, v13, s[28:29] glc
	s_waitcnt vmcnt(0)
	v_cmp_eq_u32_e32 vcc, 0, v1
	s_cbranch_vccnz .LBB62_6
.LBB62_7:                               ;   in Loop: Header=BB62_3 Depth=1
	s_or_b64 exec, exec, s[26:27]
	buffer_wbinvl1_vol
	s_barrier
	s_and_saveexec_b64 s[26:27], s[2:3]
	s_cbranch_execz .LBB62_16
; %bb.8:                                ;   in Loop: Header=BB62_3 Depth=1
	s_mul_i32 s28, s37, s5
	s_mul_i32 s40, s4, s34
	v_add_u32_e32 v14, s28, v10
	s_mov_b64 s[28:29], 0
	v_mov_b32_e32 v15, v11
	v_mov_b32_e32 v16, v12
	s_branch .LBB62_10
.LBB62_9:                               ;   in Loop: Header=BB62_10 Depth=2
	v_add_u32_e32 v5, s7, v16
	v_mad_u64_u32 v[5:6], s[30:31], v5, s35, v[9:10]
	v_mov_b32_e32 v7, s23
	v_add_u32_e32 v16, 64, v16
	v_ashrrev_i32_e32 v6, 31, v5
	v_lshlrev_b64 v[5:6], 4, v[5:6]
	v_add_u32_e32 v15, s39, v15
	v_add_co_u32_e32 v21, vcc, s22, v5
	v_addc_co_u32_e32 v22, vcc, v7, v6, vcc
	global_load_dwordx4 v[17:20], v[21:22], off
	v_cmp_le_i32_e32 vcc, s34, v16
	s_or_b64 s[28:29], vcc, s[28:29]
	s_waitcnt vmcnt(0)
	v_add_f64 v[3:4], v[17:18], -v[3:4]
	v_add_f64 v[5:6], v[19:20], -v[1:2]
	global_store_dwordx4 v[21:22], v[3:6], off
	s_andn2_b64 exec, exec, s[28:29]
	s_cbranch_execz .LBB62_16
.LBB62_10:                              ;   Parent Loop BB62_3 Depth=1
                                        ; =>  This Loop Header: Depth=2
                                        ;       Child Loop BB62_12 Depth 3
	v_mov_b32_e32 v1, 0
	v_mov_b32_e32 v3, 0
	;; [unrolled: 1-line block ×3, first 2 shown]
	s_mov_b32 s41, 0
	v_mov_b32_e32 v4, 0
	v_mov_b32_e32 v5, v14
	s_branch .LBB62_12
.LBB62_11:                              ;   in Loop: Header=BB62_12 Depth=3
	v_ashrrev_i32_e32 v7, 31, v6
	v_lshlrev_b64 v[6:7], 4, v[6:7]
	v_mov_b32_e32 v17, s11
	v_add_co_u32_e32 v6, vcc, s10, v6
	v_addc_co_u32_e32 v7, vcc, v17, v7, vcc
	global_load_dwordx4 v[17:20], v[6:7], off
	v_ashrrev_i32_e32 v6, 31, v5
	v_lshlrev_b64 v[6:7], 4, v[5:6]
	v_mov_b32_e32 v21, s23
	v_add_co_u32_e32 v6, vcc, s22, v6
	v_addc_co_u32_e32 v7, vcc, v21, v7, vcc
	global_load_dwordx4 v[21:24], v[6:7], off
	s_add_i32 s41, s41, 1
	s_cmp_eq_u32 s34, s41
	v_add_u32_e32 v5, s35, v5
	s_waitcnt vmcnt(0)
	v_fma_f64 v[3:4], v[17:18], v[21:22], v[3:4]
	v_fma_f64 v[1:2], v[19:20], v[21:22], v[1:2]
	v_fma_f64 v[3:4], -v[19:20], v[23:24], v[3:4]
	v_fma_f64 v[1:2], v[17:18], v[23:24], v[1:2]
	s_cbranch_scc1 .LBB62_9
.LBB62_12:                              ;   Parent Loop BB62_3 Depth=1
                                        ;     Parent Loop BB62_10 Depth=2
                                        ; =>    This Inner Loop Header: Depth=3
	s_and_b64 vcc, exec, s[16:17]
	s_cbranch_vccz .LBB62_14
; %bb.13:                               ;   in Loop: Header=BB62_12 Depth=3
	s_add_i32 s30, s41, s40
	s_mul_i32 s30, s30, s34
	v_add_u32_e32 v6, s30, v16
	s_cbranch_execnz .LBB62_11
	s_branch .LBB62_15
.LBB62_14:                              ;   in Loop: Header=BB62_12 Depth=3
                                        ; implicit-def: $vgpr6
.LBB62_15:                              ;   in Loop: Header=BB62_12 Depth=3
	v_add_u32_e32 v6, s41, v15
	s_branch .LBB62_11
.LBB62_16:                              ;   in Loop: Header=BB62_3 Depth=1
	s_or_b64 exec, exec, s[26:27]
	s_add_i32 s28, s4, -1
	s_cmp_le_i32 s4, s15
	v_subrev_u32_e32 v11, s38, v11
	s_cselect_b64 s[26:27], -1, 0
	s_mov_b32 s4, s28
	s_and_b64 vcc, exec, s[26:27]
	s_cbranch_vccz .LBB62_3
	s_branch .LBB62_18
.LBB62_17:
	s_mov_b32 s5, s24
.LBB62_18:
	s_cmp_lt_i32 s6, s24
	s_cselect_b64 s[16:17], -1, 0
	s_cmp_eq_u32 s6, s5
	s_cselect_b64 s[0:1], -1, 0
	s_and_b64 s[0:1], s[16:17], s[0:1]
	v_cmp_gt_i32_e32 vcc, s25, v9
	s_and_b64 s[0:1], s[0:1], vcc
	s_cmp_gt_i32 s34, 0
	s_cselect_b64 s[2:3], -1, 0
	s_and_b64 s[2:3], s[0:1], s[2:3]
	s_mov_b64 s[0:1], 0
	s_and_saveexec_b64 s[18:19], s[2:3]
	s_cbranch_execz .LBB62_35
; %bb.19:
	v_add_u32_e32 v1, s7, v12
	s_cmp_eq_u32 s13, 0
	v_mul_lo_u32 v1, s35, v1
	s_cselect_b64 s[0:1], -1, 0
	s_cmp_lg_u32 s14, 0
	s_cselect_b64 s[14:15], -1, 0
	s_add_i32 s2, s4, 1
	s_mul_i32 s2, s34, s2
	v_add3_u32 v13, v8, v1, s36
	s_add_i32 s2, s2, -1
	v_cndmask_b32_e64 v1, 0, 1, s[0:1]
	s_mul_i32 s13, s4, s34
	s_lshl_b32 s28, s35, 6
	s_mul_i32 s29, s34, s2
	s_mov_b64 s[4:5], 0
	v_cmp_ne_u32_e64 s[0:1], 1, v1
	v_mov_b32_e32 v14, 0
	v_mov_b32_e32 v15, s23
	s_mov_b32 s30, s34
	s_and_b64 vcc, exec, s[0:1]
	s_add_i32 s31, s30, -1
	s_cbranch_vccz .LBB62_21
.LBB62_20:
	v_mov_b32_e32 v7, 0
	v_mov_b32_e32 v5, 0
	;; [unrolled: 1-line block ×4, first 2 shown]
	s_branch .LBB62_22
.LBB62_21:
	s_add_i32 s2, s31, s13
	s_mul_i32 s2, s2, s34
	s_add_i32 s2, s2, s31
	s_ashr_i32 s3, s2, 31
	s_lshl_b64 s[2:3], s[2:3], 4
	s_add_u32 s2, s10, s2
	s_addc_u32 s3, s11, s3
	global_load_dwordx4 v[5:8], v14, s[2:3]
.LBB62_22:
	s_add_i32 s2, s31, s7
	s_mul_i32 s2, s2, s35
	s_waitcnt vmcnt(0)
	v_add_u32_e32 v1, s2, v9
	v_ashrrev_i32_e32 v2, 31, v1
	v_lshlrev_b64 v[1:2], 4, v[1:2]
	s_waitcnt vmcnt(0)
	v_cmp_eq_f64_e64 s[2:3], 0, v[7:8]
	v_add_co_u32_e32 v10, vcc, s22, v1
	v_addc_co_u32_e32 v11, vcc, v15, v2, vcc
	global_load_dwordx4 v[1:4], v[10:11], off
	v_cmp_eq_f64_e32 vcc, 0, v[5:6]
	s_and_b64 s[2:3], vcc, s[2:3]
	s_and_b64 vcc, exec, s[2:3]
	s_cbranch_vccnz .LBB62_24
; %bb.23:
	v_mul_f64 v[16:17], v[7:8], v[7:8]
	v_fma_f64 v[16:17], v[5:6], v[5:6], v[16:17]
	v_div_scale_f64 v[18:19], s[2:3], v[16:17], v[16:17], 1.0
	v_rcp_f64_e32 v[20:21], v[18:19]
	v_fma_f64 v[22:23], -v[18:19], v[20:21], 1.0
	v_fma_f64 v[20:21], v[20:21], v[22:23], v[20:21]
	v_div_scale_f64 v[22:23], vcc, 1.0, v[16:17], 1.0
	v_fma_f64 v[24:25], -v[18:19], v[20:21], 1.0
	v_fma_f64 v[20:21], v[20:21], v[24:25], v[20:21]
	v_mul_f64 v[24:25], v[22:23], v[20:21]
	v_fma_f64 v[18:19], -v[18:19], v[24:25], v[22:23]
	v_div_fmas_f64 v[18:19], v[18:19], v[20:21], v[24:25]
	s_waitcnt vmcnt(0)
	v_mul_f64 v[20:21], v[7:8], v[3:4]
	v_mul_f64 v[7:8], v[7:8], -v[1:2]
	v_fma_f64 v[1:2], v[1:2], v[5:6], v[20:21]
	v_fma_f64 v[3:4], v[3:4], v[5:6], v[7:8]
	v_div_fixup_f64 v[16:17], v[18:19], v[16:17], 1.0
	v_mul_f64 v[1:2], v[16:17], v[1:2]
	v_mul_f64 v[3:4], v[16:17], v[3:4]
	global_store_dwordx4 v[10:11], v[1:4], off
	v_cmp_gt_i32_e32 vcc, s31, v12
	s_and_saveexec_b64 s[2:3], vcc
	s_cbranch_execnz .LBB62_25
	s_branch .LBB62_31
.LBB62_24:
	s_mov_b64 s[4:5], -1
	v_cmp_gt_i32_e32 vcc, s31, v12
	s_and_saveexec_b64 s[2:3], vcc
	s_cbranch_execz .LBB62_31
.LBB62_25:
	s_mov_b64 s[24:25], 0
	v_mov_b32_e32 v5, v13
	v_mov_b32_e32 v8, v12
	s_branch .LBB62_27
.LBB62_26:                              ;   in Loop: Header=BB62_27 Depth=1
	v_ashrrev_i32_e32 v7, 31, v6
	v_lshlrev_b64 v[6:7], 4, v[6:7]
	v_mov_b32_e32 v10, s11
	v_add_co_u32_e32 v6, vcc, s10, v6
	v_addc_co_u32_e32 v7, vcc, v10, v7, vcc
	global_load_dwordx4 v[16:19], v[6:7], off
	v_ashrrev_i32_e32 v6, 31, v5
	v_lshlrev_b64 v[6:7], 4, v[5:6]
	v_mov_b32_e32 v10, s23
	v_add_co_u32_e32 v6, vcc, s22, v6
	v_addc_co_u32_e32 v7, vcc, v10, v7, vcc
	global_load_dwordx4 v[20:23], v[6:7], off
	v_add_u32_e32 v8, 64, v8
	v_cmp_le_i32_e32 vcc, s31, v8
	s_or_b64 s[24:25], vcc, s[24:25]
	v_add_u32_e32 v5, s28, v5
	s_waitcnt vmcnt(1)
	v_mul_f64 v[10:11], v[18:19], -v[3:4]
	v_mul_f64 v[18:19], v[1:2], v[18:19]
	v_fma_f64 v[10:11], v[1:2], v[16:17], v[10:11]
	v_fma_f64 v[18:19], v[3:4], v[16:17], v[18:19]
	s_waitcnt vmcnt(0)
	v_add_f64 v[16:17], v[20:21], -v[10:11]
	v_add_f64 v[18:19], v[22:23], -v[18:19]
	global_store_dwordx4 v[6:7], v[16:19], off
	s_andn2_b64 exec, exec, s[24:25]
	s_cbranch_execz .LBB62_31
.LBB62_27:                              ; =>This Inner Loop Header: Depth=1
	s_and_b64 vcc, exec, s[14:15]
	s_cbranch_vccz .LBB62_29
; %bb.28:                               ;   in Loop: Header=BB62_27 Depth=1
	v_add_u32_e32 v6, s29, v8
	s_cbranch_execnz .LBB62_26
	s_branch .LBB62_30
.LBB62_29:                              ;   in Loop: Header=BB62_27 Depth=1
                                        ; implicit-def: $vgpr6
.LBB62_30:                              ;   in Loop: Header=BB62_27 Depth=1
	v_add_u32_e32 v6, s13, v8
	v_mul_lo_u32 v6, v6, s34
	v_add_u32_e32 v6, s31, v6
	s_branch .LBB62_26
.LBB62_31:
	s_or_b64 exec, exec, s[2:3]
; %bb.32:
	s_sub_i32 s29, s29, s34
	s_cmp_lt_i32 s30, 2
	s_cbranch_scc1 .LBB62_34
; %bb.33:
	s_mov_b32 s30, s31
	s_and_b64 vcc, exec, s[0:1]
	s_add_i32 s31, s30, -1
	s_cbranch_vccnz .LBB62_20
	s_branch .LBB62_21
.LBB62_34:
	s_and_b64 s[0:1], s[4:5], exec
.LBB62_35:
	s_or_b64 exec, exec, s[18:19]
	v_cmp_eq_u32_e32 vcc, 0, v0
	s_and_b64 s[2:3], vcc, s[16:17]
	s_waitcnt vmcnt(0)
	buffer_wbinvl1_vol
	s_barrier
	s_and_saveexec_b64 s[4:5], s[2:3]
	s_cbranch_execz .LBB62_39
; %bb.36:
	s_add_i32 s2, s6, s33
	s_ashr_i32 s3, s2, 31
	s_lshl_b64 s[2:3], s[2:3], 2
	s_add_u32 s2, s8, s2
	s_addc_u32 s3, s9, s3
	v_mov_b32_e32 v0, 0
	v_mov_b32_e32 v1, 1
	global_store_dword v0, v1, s[2:3]
	s_and_b64 exec, exec, s[0:1]
	s_cbranch_execz .LBB62_39
; %bb.37:
	v_mbcnt_lo_u32_b32 v0, exec_lo, 0
	v_mbcnt_hi_u32_b32 v0, exec_hi, v0
	v_cmp_eq_u32_e32 vcc, 0, v0
	s_and_b64 exec, exec, vcc
	s_cbranch_execz .LBB62_39
; %bb.38:
	s_add_i32 s0, s6, s12
	v_mov_b32_e32 v0, 0
	v_mov_b32_e32 v1, s0
	global_atomic_smin v0, v1, s[20:21]
.LBB62_39:
	s_endpgm
	.section	.rodata,"a",@progbits
	.p2align	6, 0x0
	.amdhsa_kernel _ZN9rocsparseL24bsrsm_upper_large_kernelILj1024ELj16ELb0E21rocsparse_complex_numIdEEEviiPKiS4_PKT2_iPS5_iPiS4_S9_21rocsparse_index_base_20rocsparse_diag_type_20rocsparse_direction_
		.amdhsa_group_segment_fixed_size 0
		.amdhsa_private_segment_fixed_size 0
		.amdhsa_kernarg_size 92
		.amdhsa_user_sgpr_count 6
		.amdhsa_user_sgpr_private_segment_buffer 1
		.amdhsa_user_sgpr_dispatch_ptr 0
		.amdhsa_user_sgpr_queue_ptr 0
		.amdhsa_user_sgpr_kernarg_segment_ptr 1
		.amdhsa_user_sgpr_dispatch_id 0
		.amdhsa_user_sgpr_flat_scratch_init 0
		.amdhsa_user_sgpr_private_segment_size 0
		.amdhsa_uses_dynamic_stack 0
		.amdhsa_system_sgpr_private_segment_wavefront_offset 0
		.amdhsa_system_sgpr_workgroup_id_x 1
		.amdhsa_system_sgpr_workgroup_id_y 0
		.amdhsa_system_sgpr_workgroup_id_z 0
		.amdhsa_system_sgpr_workgroup_info 0
		.amdhsa_system_vgpr_workitem_id 0
		.amdhsa_next_free_vgpr 26
		.amdhsa_next_free_sgpr 42
		.amdhsa_reserve_vcc 1
		.amdhsa_reserve_flat_scratch 0
		.amdhsa_float_round_mode_32 0
		.amdhsa_float_round_mode_16_64 0
		.amdhsa_float_denorm_mode_32 3
		.amdhsa_float_denorm_mode_16_64 3
		.amdhsa_dx10_clamp 1
		.amdhsa_ieee_mode 1
		.amdhsa_fp16_overflow 0
		.amdhsa_exception_fp_ieee_invalid_op 0
		.amdhsa_exception_fp_denorm_src 0
		.amdhsa_exception_fp_ieee_div_zero 0
		.amdhsa_exception_fp_ieee_overflow 0
		.amdhsa_exception_fp_ieee_underflow 0
		.amdhsa_exception_fp_ieee_inexact 0
		.amdhsa_exception_int_div_zero 0
	.end_amdhsa_kernel
	.section	.text._ZN9rocsparseL24bsrsm_upper_large_kernelILj1024ELj16ELb0E21rocsparse_complex_numIdEEEviiPKiS4_PKT2_iPS5_iPiS4_S9_21rocsparse_index_base_20rocsparse_diag_type_20rocsparse_direction_,"axG",@progbits,_ZN9rocsparseL24bsrsm_upper_large_kernelILj1024ELj16ELb0E21rocsparse_complex_numIdEEEviiPKiS4_PKT2_iPS5_iPiS4_S9_21rocsparse_index_base_20rocsparse_diag_type_20rocsparse_direction_,comdat
.Lfunc_end62:
	.size	_ZN9rocsparseL24bsrsm_upper_large_kernelILj1024ELj16ELb0E21rocsparse_complex_numIdEEEviiPKiS4_PKT2_iPS5_iPiS4_S9_21rocsparse_index_base_20rocsparse_diag_type_20rocsparse_direction_, .Lfunc_end62-_ZN9rocsparseL24bsrsm_upper_large_kernelILj1024ELj16ELb0E21rocsparse_complex_numIdEEEviiPKiS4_PKT2_iPS5_iPiS4_S9_21rocsparse_index_base_20rocsparse_diag_type_20rocsparse_direction_
                                        ; -- End function
	.set _ZN9rocsparseL24bsrsm_upper_large_kernelILj1024ELj16ELb0E21rocsparse_complex_numIdEEEviiPKiS4_PKT2_iPS5_iPiS4_S9_21rocsparse_index_base_20rocsparse_diag_type_20rocsparse_direction_.num_vgpr, 26
	.set _ZN9rocsparseL24bsrsm_upper_large_kernelILj1024ELj16ELb0E21rocsparse_complex_numIdEEEviiPKiS4_PKT2_iPS5_iPiS4_S9_21rocsparse_index_base_20rocsparse_diag_type_20rocsparse_direction_.num_agpr, 0
	.set _ZN9rocsparseL24bsrsm_upper_large_kernelILj1024ELj16ELb0E21rocsparse_complex_numIdEEEviiPKiS4_PKT2_iPS5_iPiS4_S9_21rocsparse_index_base_20rocsparse_diag_type_20rocsparse_direction_.numbered_sgpr, 42
	.set _ZN9rocsparseL24bsrsm_upper_large_kernelILj1024ELj16ELb0E21rocsparse_complex_numIdEEEviiPKiS4_PKT2_iPS5_iPiS4_S9_21rocsparse_index_base_20rocsparse_diag_type_20rocsparse_direction_.num_named_barrier, 0
	.set _ZN9rocsparseL24bsrsm_upper_large_kernelILj1024ELj16ELb0E21rocsparse_complex_numIdEEEviiPKiS4_PKT2_iPS5_iPiS4_S9_21rocsparse_index_base_20rocsparse_diag_type_20rocsparse_direction_.private_seg_size, 0
	.set _ZN9rocsparseL24bsrsm_upper_large_kernelILj1024ELj16ELb0E21rocsparse_complex_numIdEEEviiPKiS4_PKT2_iPS5_iPiS4_S9_21rocsparse_index_base_20rocsparse_diag_type_20rocsparse_direction_.uses_vcc, 1
	.set _ZN9rocsparseL24bsrsm_upper_large_kernelILj1024ELj16ELb0E21rocsparse_complex_numIdEEEviiPKiS4_PKT2_iPS5_iPiS4_S9_21rocsparse_index_base_20rocsparse_diag_type_20rocsparse_direction_.uses_flat_scratch, 0
	.set _ZN9rocsparseL24bsrsm_upper_large_kernelILj1024ELj16ELb0E21rocsparse_complex_numIdEEEviiPKiS4_PKT2_iPS5_iPiS4_S9_21rocsparse_index_base_20rocsparse_diag_type_20rocsparse_direction_.has_dyn_sized_stack, 0
	.set _ZN9rocsparseL24bsrsm_upper_large_kernelILj1024ELj16ELb0E21rocsparse_complex_numIdEEEviiPKiS4_PKT2_iPS5_iPiS4_S9_21rocsparse_index_base_20rocsparse_diag_type_20rocsparse_direction_.has_recursion, 0
	.set _ZN9rocsparseL24bsrsm_upper_large_kernelILj1024ELj16ELb0E21rocsparse_complex_numIdEEEviiPKiS4_PKT2_iPS5_iPiS4_S9_21rocsparse_index_base_20rocsparse_diag_type_20rocsparse_direction_.has_indirect_call, 0
	.section	.AMDGPU.csdata,"",@progbits
; Kernel info:
; codeLenInByte = 1688
; TotalNumSgprs: 46
; NumVgprs: 26
; ScratchSize: 0
; MemoryBound: 0
; FloatMode: 240
; IeeeMode: 1
; LDSByteSize: 0 bytes/workgroup (compile time only)
; SGPRBlocks: 5
; VGPRBlocks: 6
; NumSGPRsForWavesPerEU: 46
; NumVGPRsForWavesPerEU: 26
; Occupancy: 9
; WaveLimiterHint : 1
; COMPUTE_PGM_RSRC2:SCRATCH_EN: 0
; COMPUTE_PGM_RSRC2:USER_SGPR: 6
; COMPUTE_PGM_RSRC2:TRAP_HANDLER: 0
; COMPUTE_PGM_RSRC2:TGID_X_EN: 1
; COMPUTE_PGM_RSRC2:TGID_Y_EN: 0
; COMPUTE_PGM_RSRC2:TGID_Z_EN: 0
; COMPUTE_PGM_RSRC2:TIDIG_COMP_CNT: 0
	.section	.text._ZN9rocsparseL24bsrsm_lower_large_kernelILj1024ELj16ELb0E21rocsparse_complex_numIdEEEviiPKiS4_PKT2_iPS5_iPiS4_S9_21rocsparse_index_base_20rocsparse_diag_type_20rocsparse_direction_,"axG",@progbits,_ZN9rocsparseL24bsrsm_lower_large_kernelILj1024ELj16ELb0E21rocsparse_complex_numIdEEEviiPKiS4_PKT2_iPS5_iPiS4_S9_21rocsparse_index_base_20rocsparse_diag_type_20rocsparse_direction_,comdat
	.globl	_ZN9rocsparseL24bsrsm_lower_large_kernelILj1024ELj16ELb0E21rocsparse_complex_numIdEEEviiPKiS4_PKT2_iPS5_iPiS4_S9_21rocsparse_index_base_20rocsparse_diag_type_20rocsparse_direction_ ; -- Begin function _ZN9rocsparseL24bsrsm_lower_large_kernelILj1024ELj16ELb0E21rocsparse_complex_numIdEEEviiPKiS4_PKT2_iPS5_iPiS4_S9_21rocsparse_index_base_20rocsparse_diag_type_20rocsparse_direction_
	.p2align	8
	.type	_ZN9rocsparseL24bsrsm_lower_large_kernelILj1024ELj16ELb0E21rocsparse_complex_numIdEEEviiPKiS4_PKT2_iPS5_iPiS4_S9_21rocsparse_index_base_20rocsparse_diag_type_20rocsparse_direction_,@function
_ZN9rocsparseL24bsrsm_lower_large_kernelILj1024ELj16ELb0E21rocsparse_complex_numIdEEEviiPKiS4_PKT2_iPS5_iPiS4_S9_21rocsparse_index_base_20rocsparse_diag_type_20rocsparse_direction_: ; @_ZN9rocsparseL24bsrsm_lower_large_kernelILj1024ELj16ELb0E21rocsparse_complex_numIdEEEviiPKiS4_PKT2_iPS5_iPiS4_S9_21rocsparse_index_base_20rocsparse_diag_type_20rocsparse_direction_
; %bb.0:
	s_load_dwordx2 s[24:25], s[4:5], 0x0
	s_load_dwordx4 s[16:19], s[4:5], 0x8
	s_load_dwordx4 s[8:11], s[4:5], 0x38
	s_load_dwordx2 s[20:21], s[4:5], 0x48
	v_lshrrev_b32_e32 v10, 6, v0
	v_and_b32_e32 v8, 63, v0
	s_waitcnt lgkmcnt(0)
	v_cvt_f32_u32_e32 v1, s24
	s_sub_i32 s0, 0, s24
	v_rcp_iflag_f32_e32 v1, v1
	v_mul_f32_e32 v1, 0x4f7ffffe, v1
	v_cvt_u32_f32_e32 v1, v1
	v_readfirstlane_b32 s1, v1
	s_mul_i32 s0, s0, s1
	s_mul_hi_u32 s0, s1, s0
	s_add_i32 s1, s1, s0
	s_mul_hi_u32 s0, s6, s1
	s_mul_i32 s1, s0, s24
	s_sub_i32 s1, s6, s1
	s_add_i32 s2, s0, 1
	s_sub_i32 s3, s1, s24
	s_cmp_ge_u32 s1, s24
	s_cselect_b32 s0, s2, s0
	s_cselect_b32 s1, s3, s1
	s_add_i32 s2, s0, 1
	s_cmp_ge_u32 s1, s24
	s_cselect_b32 s26, s2, s0
	s_mul_i32 s33, s26, s24
	s_sub_i32 s0, s6, s33
	s_ashr_i32 s1, s0, 31
	s_lshl_b64 s[0:1], s[0:1], 2
	s_add_u32 s0, s10, s0
	s_addc_u32 s1, s11, s1
	s_load_dword s6, s[0:1], 0x0
	s_load_dwordx2 s[10:11], s[4:5], 0x18
	s_load_dword s34, s[4:5], 0x20
	s_load_dwordx2 s[22:23], s[4:5], 0x28
	s_load_dword s35, s[4:5], 0x30
	s_load_dwordx4 s[12:15], s[4:5], 0x50
	s_waitcnt lgkmcnt(0)
	s_ashr_i32 s7, s6, 31
	s_lshl_b64 s[0:1], s[6:7], 2
	s_add_u32 s0, s16, s0
	s_addc_u32 s1, s17, s1
	s_load_dwordx2 s[2:3], s[0:1], 0x0
	s_lshl_b32 s36, s26, 4
	v_or_b32_e32 v9, s36, v10
	s_mul_i32 s7, s6, s34
	v_cmp_gt_i32_e32 vcc, s25, v9
	s_waitcnt lgkmcnt(0)
	s_sub_i32 s4, s2, s12
	s_cmp_ge_i32 s2, s3
	s_mul_i32 s37, s34, s34
	v_cmp_eq_u32_e64 s[0:1], 0, v0
	s_cbranch_scc1 .LBB63_17
; %bb.1:
	s_mul_i32 s5, s34, s4
	v_add_u32_e32 v1, s5, v8
	v_mul_lo_u32 v12, s34, v1
	s_sub_i32 s15, s3, s12
	v_cmp_gt_i32_e64 s[2:3], s34, v8
	s_cmp_lg_u32 s14, 0
	s_cselect_b64 s[16:17], -1, 0
	s_and_b64 s[2:3], vcc, s[2:3]
	v_add_u32_e32 v11, s36, v10
	s_mul_i32 s38, s35, s34
	s_lshl_b32 s39, s34, 6
	v_mov_b32_e32 v13, 0
	s_branch .LBB63_3
.LBB63_2:                               ;   in Loop: Header=BB63_3 Depth=1
                                        ; implicit-def: $vgpr12
	s_and_b64 vcc, exec, s[26:27]
	s_cbranch_vccnz .LBB63_18
.LBB63_3:                               ; =>This Loop Header: Depth=1
                                        ;     Child Loop BB63_6 Depth 2
                                        ;     Child Loop BB63_10 Depth 2
                                        ;       Child Loop BB63_12 Depth 3
	s_ashr_i32 s5, s4, 31
	s_lshl_b64 s[26:27], s[4:5], 2
	s_add_u32 s26, s18, s26
	s_addc_u32 s27, s19, s27
	global_load_dword v1, v13, s[26:27]
	s_mov_b64 s[26:27], -1
	s_waitcnt vmcnt(0)
	v_readfirstlane_b32 s5, v1
	s_sub_i32 s5, s5, s12
	s_cmp_ge_i32 s5, s6
	s_cbranch_scc1 .LBB63_2
; %bb.4:                                ;   in Loop: Header=BB63_3 Depth=1
	s_and_saveexec_b64 s[26:27], s[0:1]
	s_cbranch_execz .LBB63_7
; %bb.5:                                ;   in Loop: Header=BB63_3 Depth=1
	s_add_i32 s28, s5, s33
	s_ashr_i32 s29, s28, 31
	s_lshl_b64 s[28:29], s[28:29], 2
	s_add_u32 s28, s8, s28
	s_addc_u32 s29, s9, s29
	global_load_dword v1, v13, s[28:29] glc
	s_waitcnt vmcnt(0)
	v_cmp_ne_u32_e32 vcc, 0, v1
	s_cbranch_vccnz .LBB63_7
.LBB63_6:                               ;   Parent Loop BB63_3 Depth=1
                                        ; =>  This Inner Loop Header: Depth=2
	global_load_dword v1, v13, s[28:29] glc
	s_waitcnt vmcnt(0)
	v_cmp_eq_u32_e32 vcc, 0, v1
	s_cbranch_vccnz .LBB63_6
.LBB63_7:                               ;   in Loop: Header=BB63_3 Depth=1
	s_or_b64 exec, exec, s[26:27]
	buffer_wbinvl1_vol
	s_barrier
	s_and_saveexec_b64 s[26:27], s[2:3]
	s_cbranch_execz .LBB63_16
; %bb.8:                                ;   in Loop: Header=BB63_3 Depth=1
	s_mul_i32 s28, s38, s5
	s_mul_i32 s40, s4, s34
	v_add_u32_e32 v14, s28, v11
	s_mov_b64 s[28:29], 0
	v_mov_b32_e32 v15, v12
	v_mov_b32_e32 v16, v8
	s_branch .LBB63_10
.LBB63_9:                               ;   in Loop: Header=BB63_10 Depth=2
	v_add_u32_e32 v5, s7, v16
	v_mad_u64_u32 v[5:6], s[30:31], v5, s35, v[9:10]
	v_mov_b32_e32 v7, s23
	v_add_u32_e32 v16, 64, v16
	v_ashrrev_i32_e32 v6, 31, v5
	v_lshlrev_b64 v[5:6], 4, v[5:6]
	v_add_u32_e32 v15, s39, v15
	v_add_co_u32_e32 v21, vcc, s22, v5
	v_addc_co_u32_e32 v22, vcc, v7, v6, vcc
	global_load_dwordx4 v[17:20], v[21:22], off
	v_cmp_le_i32_e32 vcc, s34, v16
	s_or_b64 s[28:29], vcc, s[28:29]
	s_waitcnt vmcnt(0)
	v_add_f64 v[3:4], v[17:18], -v[3:4]
	v_add_f64 v[5:6], v[19:20], -v[1:2]
	global_store_dwordx4 v[21:22], v[3:6], off
	s_andn2_b64 exec, exec, s[28:29]
	s_cbranch_execz .LBB63_16
.LBB63_10:                              ;   Parent Loop BB63_3 Depth=1
                                        ; =>  This Loop Header: Depth=2
                                        ;       Child Loop BB63_12 Depth 3
	v_mov_b32_e32 v1, 0
	v_mov_b32_e32 v3, 0
	;; [unrolled: 1-line block ×3, first 2 shown]
	s_mov_b32 s41, 0
	v_mov_b32_e32 v4, 0
	v_mov_b32_e32 v5, v14
	s_branch .LBB63_12
.LBB63_11:                              ;   in Loop: Header=BB63_12 Depth=3
	v_ashrrev_i32_e32 v7, 31, v6
	v_lshlrev_b64 v[6:7], 4, v[6:7]
	v_mov_b32_e32 v17, s11
	v_add_co_u32_e32 v6, vcc, s10, v6
	v_addc_co_u32_e32 v7, vcc, v17, v7, vcc
	global_load_dwordx4 v[17:20], v[6:7], off
	v_ashrrev_i32_e32 v6, 31, v5
	v_lshlrev_b64 v[6:7], 4, v[5:6]
	v_mov_b32_e32 v21, s23
	v_add_co_u32_e32 v6, vcc, s22, v6
	v_addc_co_u32_e32 v7, vcc, v21, v7, vcc
	global_load_dwordx4 v[21:24], v[6:7], off
	s_add_i32 s41, s41, 1
	s_cmp_eq_u32 s34, s41
	v_add_u32_e32 v5, s35, v5
	s_waitcnt vmcnt(0)
	v_fma_f64 v[3:4], v[17:18], v[21:22], v[3:4]
	v_fma_f64 v[1:2], v[19:20], v[21:22], v[1:2]
	v_fma_f64 v[3:4], -v[19:20], v[23:24], v[3:4]
	v_fma_f64 v[1:2], v[17:18], v[23:24], v[1:2]
	s_cbranch_scc1 .LBB63_9
.LBB63_12:                              ;   Parent Loop BB63_3 Depth=1
                                        ;     Parent Loop BB63_10 Depth=2
                                        ; =>    This Inner Loop Header: Depth=3
	s_and_b64 vcc, exec, s[16:17]
	s_cbranch_vccz .LBB63_14
; %bb.13:                               ;   in Loop: Header=BB63_12 Depth=3
	s_add_i32 s30, s41, s40
	s_mul_i32 s30, s30, s34
	v_add_u32_e32 v6, s30, v16
	s_cbranch_execnz .LBB63_11
	s_branch .LBB63_15
.LBB63_14:                              ;   in Loop: Header=BB63_12 Depth=3
                                        ; implicit-def: $vgpr6
.LBB63_15:                              ;   in Loop: Header=BB63_12 Depth=3
	v_add_u32_e32 v6, s41, v15
	s_branch .LBB63_11
.LBB63_16:                              ;   in Loop: Header=BB63_3 Depth=1
	s_or_b64 exec, exec, s[26:27]
	s_add_i32 s4, s4, 1
	s_cmp_ge_i32 s4, s15
	v_add_u32_e32 v12, s37, v12
	s_cselect_b64 s[26:27], -1, 0
	s_and_b64 vcc, exec, s[26:27]
	s_cbranch_vccz .LBB63_3
	s_branch .LBB63_18
.LBB63_17:
	s_mov_b32 s5, s24
.LBB63_18:
	s_cmp_lt_i32 s6, s24
	s_cselect_b64 s[16:17], -1, 0
	s_cmp_eq_u32 s6, s5
	s_cselect_b64 s[0:1], -1, 0
	s_and_b64 s[0:1], s[16:17], s[0:1]
	v_cmp_gt_i32_e32 vcc, s25, v9
	s_and_b64 s[0:1], s[0:1], vcc
	s_cmp_gt_i32 s34, 0
	s_cselect_b64 s[2:3], -1, 0
	s_mov_b32 s28, 0
	s_and_b64 s[2:3], s[0:1], s[2:3]
	s_mov_b64 s[0:1], 0
	s_and_saveexec_b64 s[18:19], s[2:3]
	s_cbranch_execz .LBB63_34
; %bb.19:
	v_add_u32_e32 v1, s7, v8
	v_mul_lo_u32 v1, s35, v1
	s_cmp_eq_u32 s13, 0
	s_cselect_b64 s[0:1], -1, 0
	s_cmp_lg_u32 s14, 0
	v_add_u32_e32 v1, s35, v1
	v_add3_u32 v13, v10, v1, s36
	v_cndmask_b32_e64 v1, 0, 1, s[0:1]
	s_cselect_b64 s[14:15], -1, 0
	v_add_u32_e32 v12, 1, v8
	s_mul_i32 s13, s4, s34
	s_lshl_b32 s29, s35, 6
	s_mul_i32 s30, s4, s37
	s_add_i32 s31, s34, 1
	s_mov_b64 s[4:5], 0
	v_cmp_ne_u32_e64 s[0:1], 1, v1
	v_mov_b32_e32 v14, 0
	v_mov_b32_e32 v15, s23
	s_branch .LBB63_21
.LBB63_20:                              ;   in Loop: Header=BB63_21 Depth=1
	s_or_b64 exec, exec, s[2:3]
	s_add_i32 s28, s28, 1
	s_add_i32 s30, s30, s31
	s_cmp_eq_u32 s28, s34
	v_add_u32_e32 v13, s35, v13
	s_cbranch_scc1 .LBB63_33
.LBB63_21:                              ; =>This Loop Header: Depth=1
                                        ;     Child Loop BB63_29 Depth 2
	s_and_b64 vcc, exec, s[0:1]
	s_cbranch_vccz .LBB63_23
; %bb.22:                               ;   in Loop: Header=BB63_21 Depth=1
	v_mov_b32_e32 v7, 0
	v_mov_b32_e32 v5, 0
	;; [unrolled: 1-line block ×4, first 2 shown]
	s_branch .LBB63_24
.LBB63_23:                              ;   in Loop: Header=BB63_21 Depth=1
	s_add_i32 s2, s28, s13
	s_mul_i32 s2, s2, s34
	s_add_i32 s2, s2, s28
	s_ashr_i32 s3, s2, 31
	s_lshl_b64 s[2:3], s[2:3], 4
	s_add_u32 s2, s10, s2
	s_addc_u32 s3, s11, s3
	global_load_dwordx4 v[5:8], v14, s[2:3]
.LBB63_24:                              ;   in Loop: Header=BB63_21 Depth=1
	s_add_i32 s2, s28, s7
	s_mul_i32 s2, s2, s35
	s_waitcnt vmcnt(0)
	v_add_u32_e32 v1, s2, v9
	v_ashrrev_i32_e32 v2, 31, v1
	v_lshlrev_b64 v[1:2], 4, v[1:2]
	s_waitcnt vmcnt(0)
	v_cmp_eq_f64_e64 s[2:3], 0, v[7:8]
	v_add_co_u32_e32 v10, vcc, s22, v1
	v_addc_co_u32_e32 v11, vcc, v15, v2, vcc
	global_load_dwordx4 v[1:4], v[10:11], off
	v_cmp_eq_f64_e32 vcc, 0, v[5:6]
	s_and_b64 s[2:3], vcc, s[2:3]
	s_and_b64 vcc, exec, s[2:3]
	s_cbranch_vccnz .LBB63_26
; %bb.25:                               ;   in Loop: Header=BB63_21 Depth=1
	v_mul_f64 v[16:17], v[7:8], v[7:8]
	v_fma_f64 v[16:17], v[5:6], v[5:6], v[16:17]
	v_div_scale_f64 v[18:19], s[2:3], v[16:17], v[16:17], 1.0
	v_rcp_f64_e32 v[20:21], v[18:19]
	v_fma_f64 v[22:23], -v[18:19], v[20:21], 1.0
	v_fma_f64 v[20:21], v[20:21], v[22:23], v[20:21]
	v_div_scale_f64 v[22:23], vcc, 1.0, v[16:17], 1.0
	v_fma_f64 v[24:25], -v[18:19], v[20:21], 1.0
	v_fma_f64 v[20:21], v[20:21], v[24:25], v[20:21]
	v_mul_f64 v[24:25], v[22:23], v[20:21]
	v_fma_f64 v[18:19], -v[18:19], v[24:25], v[22:23]
	v_div_fmas_f64 v[18:19], v[18:19], v[20:21], v[24:25]
	s_waitcnt vmcnt(0)
	v_mul_f64 v[20:21], v[7:8], v[3:4]
	v_mul_f64 v[7:8], v[7:8], -v[1:2]
	v_fma_f64 v[1:2], v[1:2], v[5:6], v[20:21]
	v_fma_f64 v[3:4], v[3:4], v[5:6], v[7:8]
	v_div_fixup_f64 v[16:17], v[18:19], v[16:17], 1.0
	v_mul_f64 v[1:2], v[16:17], v[1:2]
	v_mul_f64 v[3:4], v[16:17], v[3:4]
	global_store_dwordx4 v[10:11], v[1:4], off
	v_add_u32_e32 v8, s28, v12
	v_cmp_gt_i32_e32 vcc, s34, v8
	s_and_saveexec_b64 s[2:3], vcc
	s_cbranch_execz .LBB63_20
	s_branch .LBB63_27
.LBB63_26:                              ;   in Loop: Header=BB63_21 Depth=1
	s_mov_b64 s[4:5], -1
	v_add_u32_e32 v8, s28, v12
	v_cmp_gt_i32_e32 vcc, s34, v8
	s_and_saveexec_b64 s[2:3], vcc
	s_cbranch_execz .LBB63_20
.LBB63_27:                              ;   in Loop: Header=BB63_21 Depth=1
	s_mov_b64 s[24:25], 0
	v_mov_b32_e32 v5, v13
	v_mov_b32_e32 v10, v12
	s_branch .LBB63_29
.LBB63_28:                              ;   in Loop: Header=BB63_29 Depth=2
	v_ashrrev_i32_e32 v7, 31, v6
	v_lshlrev_b64 v[6:7], 4, v[6:7]
	v_mov_b32_e32 v11, s11
	v_add_co_u32_e32 v6, vcc, s10, v6
	v_addc_co_u32_e32 v7, vcc, v11, v7, vcc
	global_load_dwordx4 v[16:19], v[6:7], off
	v_ashrrev_i32_e32 v6, 31, v5
	v_lshlrev_b64 v[6:7], 4, v[5:6]
	v_mov_b32_e32 v11, s23
	v_add_co_u32_e32 v6, vcc, s22, v6
	v_addc_co_u32_e32 v7, vcc, v11, v7, vcc
	global_load_dwordx4 v[20:23], v[6:7], off
	v_add_u32_e32 v10, 64, v10
	v_add_u32_e32 v11, s28, v10
	v_cmp_le_i32_e32 vcc, s34, v11
	v_add_u32_e32 v8, 64, v8
	s_or_b64 s[24:25], vcc, s[24:25]
	v_add_u32_e32 v5, s29, v5
	s_waitcnt vmcnt(1)
	v_mul_f64 v[24:25], v[18:19], -v[3:4]
	v_mul_f64 v[18:19], v[1:2], v[18:19]
	v_fma_f64 v[24:25], v[1:2], v[16:17], v[24:25]
	v_fma_f64 v[18:19], v[3:4], v[16:17], v[18:19]
	s_waitcnt vmcnt(0)
	v_add_f64 v[16:17], v[20:21], -v[24:25]
	v_add_f64 v[18:19], v[22:23], -v[18:19]
	global_store_dwordx4 v[6:7], v[16:19], off
	s_andn2_b64 exec, exec, s[24:25]
	s_cbranch_execz .LBB63_20
.LBB63_29:                              ;   Parent Loop BB63_21 Depth=1
                                        ; =>  This Inner Loop Header: Depth=2
	s_and_b64 vcc, exec, s[14:15]
	s_cbranch_vccz .LBB63_31
; %bb.30:                               ;   in Loop: Header=BB63_29 Depth=2
	v_add_u32_e32 v6, s30, v10
	s_cbranch_execnz .LBB63_28
	s_branch .LBB63_32
.LBB63_31:                              ;   in Loop: Header=BB63_29 Depth=2
                                        ; implicit-def: $vgpr6
.LBB63_32:                              ;   in Loop: Header=BB63_29 Depth=2
	v_add_u32_e32 v6, s13, v8
	v_mul_lo_u32 v6, v6, s34
	v_add_u32_e32 v6, s28, v6
	s_branch .LBB63_28
.LBB63_33:
	s_and_b64 s[0:1], s[4:5], exec
.LBB63_34:
	s_or_b64 exec, exec, s[18:19]
	v_cmp_eq_u32_e32 vcc, 0, v0
	s_and_b64 s[2:3], vcc, s[16:17]
	s_waitcnt vmcnt(0)
	buffer_wbinvl1_vol
	s_barrier
	s_and_saveexec_b64 s[4:5], s[2:3]
	s_cbranch_execz .LBB63_38
; %bb.35:
	s_add_i32 s2, s6, s33
	s_ashr_i32 s3, s2, 31
	s_lshl_b64 s[2:3], s[2:3], 2
	s_add_u32 s2, s8, s2
	s_addc_u32 s3, s9, s3
	v_mov_b32_e32 v0, 0
	v_mov_b32_e32 v1, 1
	global_store_dword v0, v1, s[2:3]
	s_and_b64 exec, exec, s[0:1]
	s_cbranch_execz .LBB63_38
; %bb.36:
	v_mbcnt_lo_u32_b32 v0, exec_lo, 0
	v_mbcnt_hi_u32_b32 v0, exec_hi, v0
	v_cmp_eq_u32_e32 vcc, 0, v0
	s_and_b64 exec, exec, vcc
	s_cbranch_execz .LBB63_38
; %bb.37:
	s_add_i32 s0, s6, s12
	v_mov_b32_e32 v0, 0
	v_mov_b32_e32 v1, s0
	global_atomic_smin v0, v1, s[20:21]
.LBB63_38:
	s_endpgm
	.section	.rodata,"a",@progbits
	.p2align	6, 0x0
	.amdhsa_kernel _ZN9rocsparseL24bsrsm_lower_large_kernelILj1024ELj16ELb0E21rocsparse_complex_numIdEEEviiPKiS4_PKT2_iPS5_iPiS4_S9_21rocsparse_index_base_20rocsparse_diag_type_20rocsparse_direction_
		.amdhsa_group_segment_fixed_size 0
		.amdhsa_private_segment_fixed_size 0
		.amdhsa_kernarg_size 92
		.amdhsa_user_sgpr_count 6
		.amdhsa_user_sgpr_private_segment_buffer 1
		.amdhsa_user_sgpr_dispatch_ptr 0
		.amdhsa_user_sgpr_queue_ptr 0
		.amdhsa_user_sgpr_kernarg_segment_ptr 1
		.amdhsa_user_sgpr_dispatch_id 0
		.amdhsa_user_sgpr_flat_scratch_init 0
		.amdhsa_user_sgpr_private_segment_size 0
		.amdhsa_uses_dynamic_stack 0
		.amdhsa_system_sgpr_private_segment_wavefront_offset 0
		.amdhsa_system_sgpr_workgroup_id_x 1
		.amdhsa_system_sgpr_workgroup_id_y 0
		.amdhsa_system_sgpr_workgroup_id_z 0
		.amdhsa_system_sgpr_workgroup_info 0
		.amdhsa_system_vgpr_workitem_id 0
		.amdhsa_next_free_vgpr 26
		.amdhsa_next_free_sgpr 42
		.amdhsa_reserve_vcc 1
		.amdhsa_reserve_flat_scratch 0
		.amdhsa_float_round_mode_32 0
		.amdhsa_float_round_mode_16_64 0
		.amdhsa_float_denorm_mode_32 3
		.amdhsa_float_denorm_mode_16_64 3
		.amdhsa_dx10_clamp 1
		.amdhsa_ieee_mode 1
		.amdhsa_fp16_overflow 0
		.amdhsa_exception_fp_ieee_invalid_op 0
		.amdhsa_exception_fp_denorm_src 0
		.amdhsa_exception_fp_ieee_div_zero 0
		.amdhsa_exception_fp_ieee_overflow 0
		.amdhsa_exception_fp_ieee_underflow 0
		.amdhsa_exception_fp_ieee_inexact 0
		.amdhsa_exception_int_div_zero 0
	.end_amdhsa_kernel
	.section	.text._ZN9rocsparseL24bsrsm_lower_large_kernelILj1024ELj16ELb0E21rocsparse_complex_numIdEEEviiPKiS4_PKT2_iPS5_iPiS4_S9_21rocsparse_index_base_20rocsparse_diag_type_20rocsparse_direction_,"axG",@progbits,_ZN9rocsparseL24bsrsm_lower_large_kernelILj1024ELj16ELb0E21rocsparse_complex_numIdEEEviiPKiS4_PKT2_iPS5_iPiS4_S9_21rocsparse_index_base_20rocsparse_diag_type_20rocsparse_direction_,comdat
.Lfunc_end63:
	.size	_ZN9rocsparseL24bsrsm_lower_large_kernelILj1024ELj16ELb0E21rocsparse_complex_numIdEEEviiPKiS4_PKT2_iPS5_iPiS4_S9_21rocsparse_index_base_20rocsparse_diag_type_20rocsparse_direction_, .Lfunc_end63-_ZN9rocsparseL24bsrsm_lower_large_kernelILj1024ELj16ELb0E21rocsparse_complex_numIdEEEviiPKiS4_PKT2_iPS5_iPiS4_S9_21rocsparse_index_base_20rocsparse_diag_type_20rocsparse_direction_
                                        ; -- End function
	.set _ZN9rocsparseL24bsrsm_lower_large_kernelILj1024ELj16ELb0E21rocsparse_complex_numIdEEEviiPKiS4_PKT2_iPS5_iPiS4_S9_21rocsparse_index_base_20rocsparse_diag_type_20rocsparse_direction_.num_vgpr, 26
	.set _ZN9rocsparseL24bsrsm_lower_large_kernelILj1024ELj16ELb0E21rocsparse_complex_numIdEEEviiPKiS4_PKT2_iPS5_iPiS4_S9_21rocsparse_index_base_20rocsparse_diag_type_20rocsparse_direction_.num_agpr, 0
	.set _ZN9rocsparseL24bsrsm_lower_large_kernelILj1024ELj16ELb0E21rocsparse_complex_numIdEEEviiPKiS4_PKT2_iPS5_iPiS4_S9_21rocsparse_index_base_20rocsparse_diag_type_20rocsparse_direction_.numbered_sgpr, 42
	.set _ZN9rocsparseL24bsrsm_lower_large_kernelILj1024ELj16ELb0E21rocsparse_complex_numIdEEEviiPKiS4_PKT2_iPS5_iPiS4_S9_21rocsparse_index_base_20rocsparse_diag_type_20rocsparse_direction_.num_named_barrier, 0
	.set _ZN9rocsparseL24bsrsm_lower_large_kernelILj1024ELj16ELb0E21rocsparse_complex_numIdEEEviiPKiS4_PKT2_iPS5_iPiS4_S9_21rocsparse_index_base_20rocsparse_diag_type_20rocsparse_direction_.private_seg_size, 0
	.set _ZN9rocsparseL24bsrsm_lower_large_kernelILj1024ELj16ELb0E21rocsparse_complex_numIdEEEviiPKiS4_PKT2_iPS5_iPiS4_S9_21rocsparse_index_base_20rocsparse_diag_type_20rocsparse_direction_.uses_vcc, 1
	.set _ZN9rocsparseL24bsrsm_lower_large_kernelILj1024ELj16ELb0E21rocsparse_complex_numIdEEEviiPKiS4_PKT2_iPS5_iPiS4_S9_21rocsparse_index_base_20rocsparse_diag_type_20rocsparse_direction_.uses_flat_scratch, 0
	.set _ZN9rocsparseL24bsrsm_lower_large_kernelILj1024ELj16ELb0E21rocsparse_complex_numIdEEEviiPKiS4_PKT2_iPS5_iPiS4_S9_21rocsparse_index_base_20rocsparse_diag_type_20rocsparse_direction_.has_dyn_sized_stack, 0
	.set _ZN9rocsparseL24bsrsm_lower_large_kernelILj1024ELj16ELb0E21rocsparse_complex_numIdEEEviiPKiS4_PKT2_iPS5_iPiS4_S9_21rocsparse_index_base_20rocsparse_diag_type_20rocsparse_direction_.has_recursion, 0
	.set _ZN9rocsparseL24bsrsm_lower_large_kernelILj1024ELj16ELb0E21rocsparse_complex_numIdEEEviiPKiS4_PKT2_iPS5_iPiS4_S9_21rocsparse_index_base_20rocsparse_diag_type_20rocsparse_direction_.has_indirect_call, 0
	.section	.AMDGPU.csdata,"",@progbits
; Kernel info:
; codeLenInByte = 1684
; TotalNumSgprs: 46
; NumVgprs: 26
; ScratchSize: 0
; MemoryBound: 0
; FloatMode: 240
; IeeeMode: 1
; LDSByteSize: 0 bytes/workgroup (compile time only)
; SGPRBlocks: 5
; VGPRBlocks: 6
; NumSGPRsForWavesPerEU: 46
; NumVGPRsForWavesPerEU: 26
; Occupancy: 9
; WaveLimiterHint : 1
; COMPUTE_PGM_RSRC2:SCRATCH_EN: 0
; COMPUTE_PGM_RSRC2:USER_SGPR: 6
; COMPUTE_PGM_RSRC2:TRAP_HANDLER: 0
; COMPUTE_PGM_RSRC2:TGID_X_EN: 1
; COMPUTE_PGM_RSRC2:TGID_Y_EN: 0
; COMPUTE_PGM_RSRC2:TGID_Z_EN: 0
; COMPUTE_PGM_RSRC2:TIDIG_COMP_CNT: 0
	.section	.AMDGPU.gpr_maximums,"",@progbits
	.set amdgpu.max_num_vgpr, 0
	.set amdgpu.max_num_agpr, 0
	.set amdgpu.max_num_sgpr, 0
	.section	.AMDGPU.csdata,"",@progbits
	.type	__hip_cuid_52d752525c692b9b,@object ; @__hip_cuid_52d752525c692b9b
	.section	.bss,"aw",@nobits
	.globl	__hip_cuid_52d752525c692b9b
__hip_cuid_52d752525c692b9b:
	.byte	0                               ; 0x0
	.size	__hip_cuid_52d752525c692b9b, 1

	.ident	"AMD clang version 22.0.0git (https://github.com/RadeonOpenCompute/llvm-project roc-7.2.4 26084 f58b06dce1f9c15707c5f808fd002e18c2accf7e)"
	.section	".note.GNU-stack","",@progbits
	.addrsig
	.addrsig_sym __hip_cuid_52d752525c692b9b
	.amdgpu_metadata
---
amdhsa.kernels:
  - .args:
      - .offset:         0
        .size:           4
        .value_kind:     by_value
      - .offset:         4
        .size:           4
        .value_kind:     by_value
      - .offset:         8
        .size:           8
        .value_kind:     by_value
      - .address_space:  global
        .offset:         16
        .size:           8
        .value_kind:     global_buffer
      - .offset:         24
        .size:           8
        .value_kind:     by_value
      - .address_space:  global
        .offset:         32
        .size:           8
        .value_kind:     global_buffer
      - .offset:         40
        .size:           8
        .value_kind:     by_value
      - .offset:         48
        .size:           1
        .value_kind:     by_value
      - .offset:         56
        .size:           4
        .value_kind:     hidden_block_count_x
      - .offset:         60
        .size:           4
        .value_kind:     hidden_block_count_y
      - .offset:         64
        .size:           4
        .value_kind:     hidden_block_count_z
      - .offset:         68
        .size:           2
        .value_kind:     hidden_group_size_x
      - .offset:         70
        .size:           2
        .value_kind:     hidden_group_size_y
      - .offset:         72
        .size:           2
        .value_kind:     hidden_group_size_z
      - .offset:         74
        .size:           2
        .value_kind:     hidden_remainder_x
      - .offset:         76
        .size:           2
        .value_kind:     hidden_remainder_y
      - .offset:         78
        .size:           2
        .value_kind:     hidden_remainder_z
      - .offset:         96
        .size:           8
        .value_kind:     hidden_global_offset_x
      - .offset:         104
        .size:           8
        .value_kind:     hidden_global_offset_y
      - .offset:         112
        .size:           8
        .value_kind:     hidden_global_offset_z
      - .offset:         120
        .size:           2
        .value_kind:     hidden_grid_dims
    .group_segment_fixed_size: 0
    .kernarg_segment_align: 8
    .kernarg_segment_size: 312
    .language:       OpenCL C
    .language_version:
      - 2
      - 0
    .max_flat_workgroup_size: 1024
    .name:           _ZN9rocsparseL16bsrsm_copy_scaleILj1024EfEEviiNS_24const_host_device_scalarIT0_EEPKS2_lPS2_lb
    .private_segment_fixed_size: 0
    .sgpr_count:     20
    .sgpr_spill_count: 0
    .symbol:         _ZN9rocsparseL16bsrsm_copy_scaleILj1024EfEEviiNS_24const_host_device_scalarIT0_EEPKS2_lPS2_lb.kd
    .uniform_work_group_size: 1
    .uses_dynamic_stack: false
    .vgpr_count:     9
    .vgpr_spill_count: 0
    .wavefront_size: 64
  - .args:
      - .offset:         0
        .size:           4
        .value_kind:     by_value
      - .offset:         4
        .size:           4
        .value_kind:     by_value
      - .actual_access:  read_only
        .address_space:  global
        .offset:         8
        .size:           8
        .value_kind:     global_buffer
      - .actual_access:  read_only
        .address_space:  global
        .offset:         16
        .size:           8
        .value_kind:     global_buffer
      - .actual_access:  write_only
        .address_space:  global
        .offset:         24
        .size:           8
        .value_kind:     global_buffer
      - .offset:         32
        .size:           4
        .value_kind:     by_value
    .group_segment_fixed_size: 0
    .kernarg_segment_align: 8
    .kernarg_segment_size: 36
    .language:       OpenCL C
    .language_version:
      - 2
      - 0
    .max_flat_workgroup_size: 256
    .name:           _ZN9rocsparseL10bsr_gatherILj4ELj64ELj2EifEEv20rocsparse_direction_T2_PKS2_PKT3_PS5_S2_
    .private_segment_fixed_size: 0
    .sgpr_count:     22
    .sgpr_spill_count: 0
    .symbol:         _ZN9rocsparseL10bsr_gatherILj4ELj64ELj2EifEEv20rocsparse_direction_T2_PKS2_PKT3_PS5_S2_.kd
    .uniform_work_group_size: 1
    .uses_dynamic_stack: false
    .vgpr_count:     11
    .vgpr_spill_count: 0
    .wavefront_size: 64
  - .args:
      - .offset:         0
        .size:           4
        .value_kind:     by_value
      - .offset:         4
        .size:           4
        .value_kind:     by_value
      - .actual_access:  read_only
        .address_space:  global
        .offset:         8
        .size:           8
        .value_kind:     global_buffer
      - .actual_access:  read_only
        .address_space:  global
        .offset:         16
        .size:           8
        .value_kind:     global_buffer
      - .actual_access:  write_only
        .address_space:  global
        .offset:         24
        .size:           8
        .value_kind:     global_buffer
      - .offset:         32
        .size:           4
        .value_kind:     by_value
    .group_segment_fixed_size: 0
    .kernarg_segment_align: 8
    .kernarg_segment_size: 36
    .language:       OpenCL C
    .language_version:
      - 2
      - 0
    .max_flat_workgroup_size: 256
    .name:           _ZN9rocsparseL10bsr_gatherILj16ELj16ELj4EifEEv20rocsparse_direction_T2_PKS2_PKT3_PS5_S2_
    .private_segment_fixed_size: 0
    .sgpr_count:     22
    .sgpr_spill_count: 0
    .symbol:         _ZN9rocsparseL10bsr_gatherILj16ELj16ELj4EifEEv20rocsparse_direction_T2_PKS2_PKT3_PS5_S2_.kd
    .uniform_work_group_size: 1
    .uses_dynamic_stack: false
    .vgpr_count:     11
    .vgpr_spill_count: 0
    .wavefront_size: 64
  - .args:
      - .offset:         0
        .size:           4
        .value_kind:     by_value
      - .offset:         4
        .size:           4
        .value_kind:     by_value
      - .actual_access:  read_only
        .address_space:  global
        .offset:         8
        .size:           8
        .value_kind:     global_buffer
      - .actual_access:  read_only
        .address_space:  global
        .offset:         16
        .size:           8
        .value_kind:     global_buffer
      - .actual_access:  write_only
        .address_space:  global
        .offset:         24
        .size:           8
        .value_kind:     global_buffer
      - .offset:         32
        .size:           4
        .value_kind:     by_value
    .group_segment_fixed_size: 0
    .kernarg_segment_align: 8
    .kernarg_segment_size: 36
    .language:       OpenCL C
    .language_version:
      - 2
      - 0
    .max_flat_workgroup_size: 256
    .name:           _ZN9rocsparseL10bsr_gatherILj64ELj4ELj8EifEEv20rocsparse_direction_T2_PKS2_PKT3_PS5_S2_
    .private_segment_fixed_size: 0
    .sgpr_count:     22
    .sgpr_spill_count: 0
    .symbol:         _ZN9rocsparseL10bsr_gatherILj64ELj4ELj8EifEEv20rocsparse_direction_T2_PKS2_PKT3_PS5_S2_.kd
    .uniform_work_group_size: 1
    .uses_dynamic_stack: false
    .vgpr_count:     11
    .vgpr_spill_count: 0
    .wavefront_size: 64
  - .args:
      - .offset:         0
        .size:           4
        .value_kind:     by_value
      - .offset:         4
        .size:           4
        .value_kind:     by_value
      - .address_space:  global
        .offset:         8
        .size:           8
        .value_kind:     global_buffer
      - .address_space:  global
        .offset:         16
        .size:           8
        .value_kind:     global_buffer
      - .address_space:  global
        .offset:         24
        .size:           8
        .value_kind:     global_buffer
      - .offset:         32
        .size:           4
        .value_kind:     by_value
      - .address_space:  global
        .offset:         40
        .size:           8
        .value_kind:     global_buffer
      - .offset:         48
        .size:           4
        .value_kind:     by_value
      - .address_space:  global
        .offset:         56
        .size:           8
        .value_kind:     global_buffer
      - .address_space:  global
        .offset:         64
        .size:           8
        .value_kind:     global_buffer
      - .address_space:  global
        .offset:         72
        .size:           8
        .value_kind:     global_buffer
      - .offset:         80
        .size:           4
        .value_kind:     by_value
      - .offset:         84
        .size:           4
        .value_kind:     by_value
      - .offset:         88
        .size:           4
        .value_kind:     by_value
    .group_segment_fixed_size: 0
    .kernarg_segment_align: 8
    .kernarg_segment_size: 92
    .language:       OpenCL C
    .language_version:
      - 2
      - 0
    .max_flat_workgroup_size: 256
    .name:           _ZN9rocsparseL24bsrsm_upper_large_kernelILj256ELj16ELb1EfEEviiPKiS2_PKT2_iPS3_iPiS2_S7_21rocsparse_index_base_20rocsparse_diag_type_20rocsparse_direction_
    .private_segment_fixed_size: 0
    .sgpr_count:     46
    .sgpr_spill_count: 0
    .symbol:         _ZN9rocsparseL24bsrsm_upper_large_kernelILj256ELj16ELb1EfEEviiPKiS2_PKT2_iPS3_iPiS2_S7_21rocsparse_index_base_20rocsparse_diag_type_20rocsparse_direction_.kd
    .uniform_work_group_size: 1
    .uses_dynamic_stack: false
    .vgpr_count:     15
    .vgpr_spill_count: 0
    .wavefront_size: 64
  - .args:
      - .offset:         0
        .size:           4
        .value_kind:     by_value
      - .offset:         4
        .size:           4
        .value_kind:     by_value
      - .address_space:  global
        .offset:         8
        .size:           8
        .value_kind:     global_buffer
      - .address_space:  global
        .offset:         16
        .size:           8
        .value_kind:     global_buffer
      - .address_space:  global
        .offset:         24
        .size:           8
        .value_kind:     global_buffer
      - .offset:         32
        .size:           4
        .value_kind:     by_value
      - .address_space:  global
        .offset:         40
        .size:           8
        .value_kind:     global_buffer
      - .offset:         48
        .size:           4
        .value_kind:     by_value
      - .address_space:  global
        .offset:         56
        .size:           8
        .value_kind:     global_buffer
      - .address_space:  global
        .offset:         64
        .size:           8
        .value_kind:     global_buffer
      - .address_space:  global
        .offset:         72
        .size:           8
        .value_kind:     global_buffer
      - .offset:         80
        .size:           4
        .value_kind:     by_value
      - .offset:         84
        .size:           4
        .value_kind:     by_value
      - .offset:         88
        .size:           4
        .value_kind:     by_value
    .group_segment_fixed_size: 0
    .kernarg_segment_align: 8
    .kernarg_segment_size: 92
    .language:       OpenCL C
    .language_version:
      - 2
      - 0
    .max_flat_workgroup_size: 256
    .name:           _ZN9rocsparseL24bsrsm_lower_large_kernelILj256ELj16ELb1EfEEviiPKiS2_PKT2_iPS3_iPiS2_S7_21rocsparse_index_base_20rocsparse_diag_type_20rocsparse_direction_
    .private_segment_fixed_size: 0
    .sgpr_count:     46
    .sgpr_spill_count: 0
    .symbol:         _ZN9rocsparseL24bsrsm_lower_large_kernelILj256ELj16ELb1EfEEviiPKiS2_PKT2_iPS3_iPiS2_S7_21rocsparse_index_base_20rocsparse_diag_type_20rocsparse_direction_.kd
    .uniform_work_group_size: 1
    .uses_dynamic_stack: false
    .vgpr_count:     15
    .vgpr_spill_count: 0
    .wavefront_size: 64
  - .args:
      - .offset:         0
        .size:           4
        .value_kind:     by_value
      - .offset:         4
        .size:           4
        .value_kind:     by_value
      - .address_space:  global
        .offset:         8
        .size:           8
        .value_kind:     global_buffer
      - .address_space:  global
        .offset:         16
        .size:           8
        .value_kind:     global_buffer
      - .address_space:  global
        .offset:         24
        .size:           8
        .value_kind:     global_buffer
      - .offset:         32
        .size:           4
        .value_kind:     by_value
      - .address_space:  global
        .offset:         40
        .size:           8
        .value_kind:     global_buffer
      - .offset:         48
        .size:           4
        .value_kind:     by_value
      - .address_space:  global
        .offset:         56
        .size:           8
        .value_kind:     global_buffer
      - .address_space:  global
        .offset:         64
        .size:           8
        .value_kind:     global_buffer
      - .address_space:  global
        .offset:         72
        .size:           8
        .value_kind:     global_buffer
      - .offset:         80
        .size:           4
        .value_kind:     by_value
      - .offset:         84
        .size:           4
        .value_kind:     by_value
      - .offset:         88
        .size:           4
        .value_kind:     by_value
    .group_segment_fixed_size: 0
    .kernarg_segment_align: 8
    .kernarg_segment_size: 92
    .language:       OpenCL C
    .language_version:
      - 2
      - 0
    .max_flat_workgroup_size: 64
    .name:           _ZN9rocsparseL24bsrsm_upper_large_kernelILj64ELj16ELb0EfEEviiPKiS2_PKT2_iPS3_iPiS2_S7_21rocsparse_index_base_20rocsparse_diag_type_20rocsparse_direction_
    .private_segment_fixed_size: 0
    .sgpr_count:     46
    .sgpr_spill_count: 0
    .symbol:         _ZN9rocsparseL24bsrsm_upper_large_kernelILj64ELj16ELb0EfEEviiPKiS2_PKT2_iPS3_iPiS2_S7_21rocsparse_index_base_20rocsparse_diag_type_20rocsparse_direction_.kd
    .uniform_work_group_size: 1
    .uses_dynamic_stack: false
    .vgpr_count:     15
    .vgpr_spill_count: 0
    .wavefront_size: 64
  - .args:
      - .offset:         0
        .size:           4
        .value_kind:     by_value
      - .offset:         4
        .size:           4
        .value_kind:     by_value
      - .address_space:  global
        .offset:         8
        .size:           8
        .value_kind:     global_buffer
      - .address_space:  global
        .offset:         16
        .size:           8
        .value_kind:     global_buffer
      - .address_space:  global
        .offset:         24
        .size:           8
        .value_kind:     global_buffer
      - .offset:         32
        .size:           4
        .value_kind:     by_value
      - .address_space:  global
        .offset:         40
        .size:           8
        .value_kind:     global_buffer
      - .offset:         48
        .size:           4
        .value_kind:     by_value
      - .address_space:  global
        .offset:         56
        .size:           8
        .value_kind:     global_buffer
      - .address_space:  global
        .offset:         64
        .size:           8
        .value_kind:     global_buffer
      - .address_space:  global
        .offset:         72
        .size:           8
        .value_kind:     global_buffer
      - .offset:         80
        .size:           4
        .value_kind:     by_value
      - .offset:         84
        .size:           4
        .value_kind:     by_value
      - .offset:         88
        .size:           4
        .value_kind:     by_value
    .group_segment_fixed_size: 0
    .kernarg_segment_align: 8
    .kernarg_segment_size: 92
    .language:       OpenCL C
    .language_version:
      - 2
      - 0
    .max_flat_workgroup_size: 64
    .name:           _ZN9rocsparseL24bsrsm_lower_large_kernelILj64ELj16ELb0EfEEviiPKiS2_PKT2_iPS3_iPiS2_S7_21rocsparse_index_base_20rocsparse_diag_type_20rocsparse_direction_
    .private_segment_fixed_size: 0
    .sgpr_count:     46
    .sgpr_spill_count: 0
    .symbol:         _ZN9rocsparseL24bsrsm_lower_large_kernelILj64ELj16ELb0EfEEviiPKiS2_PKT2_iPS3_iPiS2_S7_21rocsparse_index_base_20rocsparse_diag_type_20rocsparse_direction_.kd
    .uniform_work_group_size: 1
    .uses_dynamic_stack: false
    .vgpr_count:     15
    .vgpr_spill_count: 0
    .wavefront_size: 64
  - .args:
      - .offset:         0
        .size:           4
        .value_kind:     by_value
      - .offset:         4
        .size:           4
        .value_kind:     by_value
      - .address_space:  global
        .offset:         8
        .size:           8
        .value_kind:     global_buffer
      - .address_space:  global
        .offset:         16
        .size:           8
        .value_kind:     global_buffer
      - .address_space:  global
        .offset:         24
        .size:           8
        .value_kind:     global_buffer
      - .offset:         32
        .size:           4
        .value_kind:     by_value
      - .address_space:  global
        .offset:         40
        .size:           8
        .value_kind:     global_buffer
      - .offset:         48
        .size:           4
        .value_kind:     by_value
      - .address_space:  global
        .offset:         56
        .size:           8
        .value_kind:     global_buffer
      - .address_space:  global
        .offset:         64
        .size:           8
        .value_kind:     global_buffer
      - .address_space:  global
        .offset:         72
        .size:           8
        .value_kind:     global_buffer
      - .offset:         80
        .size:           4
        .value_kind:     by_value
      - .offset:         84
        .size:           4
        .value_kind:     by_value
      - .offset:         88
        .size:           4
        .value_kind:     by_value
    .group_segment_fixed_size: 0
    .kernarg_segment_align: 8
    .kernarg_segment_size: 92
    .language:       OpenCL C
    .language_version:
      - 2
      - 0
    .max_flat_workgroup_size: 128
    .name:           _ZN9rocsparseL24bsrsm_upper_large_kernelILj128ELj16ELb0EfEEviiPKiS2_PKT2_iPS3_iPiS2_S7_21rocsparse_index_base_20rocsparse_diag_type_20rocsparse_direction_
    .private_segment_fixed_size: 0
    .sgpr_count:     46
    .sgpr_spill_count: 0
    .symbol:         _ZN9rocsparseL24bsrsm_upper_large_kernelILj128ELj16ELb0EfEEviiPKiS2_PKT2_iPS3_iPiS2_S7_21rocsparse_index_base_20rocsparse_diag_type_20rocsparse_direction_.kd
    .uniform_work_group_size: 1
    .uses_dynamic_stack: false
    .vgpr_count:     15
    .vgpr_spill_count: 0
    .wavefront_size: 64
  - .args:
      - .offset:         0
        .size:           4
        .value_kind:     by_value
      - .offset:         4
        .size:           4
        .value_kind:     by_value
      - .address_space:  global
        .offset:         8
        .size:           8
        .value_kind:     global_buffer
      - .address_space:  global
        .offset:         16
        .size:           8
        .value_kind:     global_buffer
      - .address_space:  global
        .offset:         24
        .size:           8
        .value_kind:     global_buffer
      - .offset:         32
        .size:           4
        .value_kind:     by_value
      - .address_space:  global
        .offset:         40
        .size:           8
        .value_kind:     global_buffer
      - .offset:         48
        .size:           4
        .value_kind:     by_value
      - .address_space:  global
        .offset:         56
        .size:           8
        .value_kind:     global_buffer
      - .address_space:  global
        .offset:         64
        .size:           8
        .value_kind:     global_buffer
      - .address_space:  global
        .offset:         72
        .size:           8
        .value_kind:     global_buffer
      - .offset:         80
        .size:           4
        .value_kind:     by_value
      - .offset:         84
        .size:           4
        .value_kind:     by_value
      - .offset:         88
        .size:           4
        .value_kind:     by_value
    .group_segment_fixed_size: 0
    .kernarg_segment_align: 8
    .kernarg_segment_size: 92
    .language:       OpenCL C
    .language_version:
      - 2
      - 0
    .max_flat_workgroup_size: 128
    .name:           _ZN9rocsparseL24bsrsm_lower_large_kernelILj128ELj16ELb0EfEEviiPKiS2_PKT2_iPS3_iPiS2_S7_21rocsparse_index_base_20rocsparse_diag_type_20rocsparse_direction_
    .private_segment_fixed_size: 0
    .sgpr_count:     46
    .sgpr_spill_count: 0
    .symbol:         _ZN9rocsparseL24bsrsm_lower_large_kernelILj128ELj16ELb0EfEEviiPKiS2_PKT2_iPS3_iPiS2_S7_21rocsparse_index_base_20rocsparse_diag_type_20rocsparse_direction_.kd
    .uniform_work_group_size: 1
    .uses_dynamic_stack: false
    .vgpr_count:     15
    .vgpr_spill_count: 0
    .wavefront_size: 64
  - .args:
      - .offset:         0
        .size:           4
        .value_kind:     by_value
      - .offset:         4
        .size:           4
        .value_kind:     by_value
      - .address_space:  global
        .offset:         8
        .size:           8
        .value_kind:     global_buffer
      - .address_space:  global
        .offset:         16
        .size:           8
        .value_kind:     global_buffer
      - .address_space:  global
        .offset:         24
        .size:           8
        .value_kind:     global_buffer
      - .offset:         32
        .size:           4
        .value_kind:     by_value
      - .address_space:  global
        .offset:         40
        .size:           8
        .value_kind:     global_buffer
      - .offset:         48
        .size:           4
        .value_kind:     by_value
      - .address_space:  global
        .offset:         56
        .size:           8
        .value_kind:     global_buffer
      - .address_space:  global
        .offset:         64
        .size:           8
        .value_kind:     global_buffer
      - .address_space:  global
        .offset:         72
        .size:           8
        .value_kind:     global_buffer
      - .offset:         80
        .size:           4
        .value_kind:     by_value
      - .offset:         84
        .size:           4
        .value_kind:     by_value
      - .offset:         88
        .size:           4
        .value_kind:     by_value
    .group_segment_fixed_size: 0
    .kernarg_segment_align: 8
    .kernarg_segment_size: 92
    .language:       OpenCL C
    .language_version:
      - 2
      - 0
    .max_flat_workgroup_size: 256
    .name:           _ZN9rocsparseL24bsrsm_upper_large_kernelILj256ELj16ELb0EfEEviiPKiS2_PKT2_iPS3_iPiS2_S7_21rocsparse_index_base_20rocsparse_diag_type_20rocsparse_direction_
    .private_segment_fixed_size: 0
    .sgpr_count:     46
    .sgpr_spill_count: 0
    .symbol:         _ZN9rocsparseL24bsrsm_upper_large_kernelILj256ELj16ELb0EfEEviiPKiS2_PKT2_iPS3_iPiS2_S7_21rocsparse_index_base_20rocsparse_diag_type_20rocsparse_direction_.kd
    .uniform_work_group_size: 1
    .uses_dynamic_stack: false
    .vgpr_count:     15
    .vgpr_spill_count: 0
    .wavefront_size: 64
  - .args:
      - .offset:         0
        .size:           4
        .value_kind:     by_value
      - .offset:         4
        .size:           4
        .value_kind:     by_value
      - .address_space:  global
        .offset:         8
        .size:           8
        .value_kind:     global_buffer
      - .address_space:  global
        .offset:         16
        .size:           8
        .value_kind:     global_buffer
      - .address_space:  global
        .offset:         24
        .size:           8
        .value_kind:     global_buffer
      - .offset:         32
        .size:           4
        .value_kind:     by_value
      - .address_space:  global
        .offset:         40
        .size:           8
        .value_kind:     global_buffer
      - .offset:         48
        .size:           4
        .value_kind:     by_value
      - .address_space:  global
        .offset:         56
        .size:           8
        .value_kind:     global_buffer
      - .address_space:  global
        .offset:         64
        .size:           8
        .value_kind:     global_buffer
      - .address_space:  global
        .offset:         72
        .size:           8
        .value_kind:     global_buffer
      - .offset:         80
        .size:           4
        .value_kind:     by_value
      - .offset:         84
        .size:           4
        .value_kind:     by_value
      - .offset:         88
        .size:           4
        .value_kind:     by_value
    .group_segment_fixed_size: 0
    .kernarg_segment_align: 8
    .kernarg_segment_size: 92
    .language:       OpenCL C
    .language_version:
      - 2
      - 0
    .max_flat_workgroup_size: 256
    .name:           _ZN9rocsparseL24bsrsm_lower_large_kernelILj256ELj16ELb0EfEEviiPKiS2_PKT2_iPS3_iPiS2_S7_21rocsparse_index_base_20rocsparse_diag_type_20rocsparse_direction_
    .private_segment_fixed_size: 0
    .sgpr_count:     46
    .sgpr_spill_count: 0
    .symbol:         _ZN9rocsparseL24bsrsm_lower_large_kernelILj256ELj16ELb0EfEEviiPKiS2_PKT2_iPS3_iPiS2_S7_21rocsparse_index_base_20rocsparse_diag_type_20rocsparse_direction_.kd
    .uniform_work_group_size: 1
    .uses_dynamic_stack: false
    .vgpr_count:     15
    .vgpr_spill_count: 0
    .wavefront_size: 64
  - .args:
      - .offset:         0
        .size:           4
        .value_kind:     by_value
      - .offset:         4
        .size:           4
        .value_kind:     by_value
      - .address_space:  global
        .offset:         8
        .size:           8
        .value_kind:     global_buffer
      - .address_space:  global
        .offset:         16
        .size:           8
        .value_kind:     global_buffer
      - .address_space:  global
        .offset:         24
        .size:           8
        .value_kind:     global_buffer
      - .offset:         32
        .size:           4
        .value_kind:     by_value
      - .address_space:  global
        .offset:         40
        .size:           8
        .value_kind:     global_buffer
      - .offset:         48
        .size:           4
        .value_kind:     by_value
      - .address_space:  global
        .offset:         56
        .size:           8
        .value_kind:     global_buffer
      - .address_space:  global
        .offset:         64
        .size:           8
        .value_kind:     global_buffer
      - .address_space:  global
        .offset:         72
        .size:           8
        .value_kind:     global_buffer
      - .offset:         80
        .size:           4
        .value_kind:     by_value
      - .offset:         84
        .size:           4
        .value_kind:     by_value
      - .offset:         88
        .size:           4
        .value_kind:     by_value
    .group_segment_fixed_size: 0
    .kernarg_segment_align: 8
    .kernarg_segment_size: 92
    .language:       OpenCL C
    .language_version:
      - 2
      - 0
    .max_flat_workgroup_size: 512
    .name:           _ZN9rocsparseL24bsrsm_upper_large_kernelILj512ELj16ELb0EfEEviiPKiS2_PKT2_iPS3_iPiS2_S7_21rocsparse_index_base_20rocsparse_diag_type_20rocsparse_direction_
    .private_segment_fixed_size: 0
    .sgpr_count:     46
    .sgpr_spill_count: 0
    .symbol:         _ZN9rocsparseL24bsrsm_upper_large_kernelILj512ELj16ELb0EfEEviiPKiS2_PKT2_iPS3_iPiS2_S7_21rocsparse_index_base_20rocsparse_diag_type_20rocsparse_direction_.kd
    .uniform_work_group_size: 1
    .uses_dynamic_stack: false
    .vgpr_count:     15
    .vgpr_spill_count: 0
    .wavefront_size: 64
  - .args:
      - .offset:         0
        .size:           4
        .value_kind:     by_value
      - .offset:         4
        .size:           4
        .value_kind:     by_value
      - .address_space:  global
        .offset:         8
        .size:           8
        .value_kind:     global_buffer
      - .address_space:  global
        .offset:         16
        .size:           8
        .value_kind:     global_buffer
      - .address_space:  global
        .offset:         24
        .size:           8
        .value_kind:     global_buffer
      - .offset:         32
        .size:           4
        .value_kind:     by_value
      - .address_space:  global
        .offset:         40
        .size:           8
        .value_kind:     global_buffer
      - .offset:         48
        .size:           4
        .value_kind:     by_value
      - .address_space:  global
        .offset:         56
        .size:           8
        .value_kind:     global_buffer
      - .address_space:  global
        .offset:         64
        .size:           8
        .value_kind:     global_buffer
      - .address_space:  global
        .offset:         72
        .size:           8
        .value_kind:     global_buffer
      - .offset:         80
        .size:           4
        .value_kind:     by_value
      - .offset:         84
        .size:           4
        .value_kind:     by_value
      - .offset:         88
        .size:           4
        .value_kind:     by_value
    .group_segment_fixed_size: 0
    .kernarg_segment_align: 8
    .kernarg_segment_size: 92
    .language:       OpenCL C
    .language_version:
      - 2
      - 0
    .max_flat_workgroup_size: 512
    .name:           _ZN9rocsparseL24bsrsm_lower_large_kernelILj512ELj16ELb0EfEEviiPKiS2_PKT2_iPS3_iPiS2_S7_21rocsparse_index_base_20rocsparse_diag_type_20rocsparse_direction_
    .private_segment_fixed_size: 0
    .sgpr_count:     46
    .sgpr_spill_count: 0
    .symbol:         _ZN9rocsparseL24bsrsm_lower_large_kernelILj512ELj16ELb0EfEEviiPKiS2_PKT2_iPS3_iPiS2_S7_21rocsparse_index_base_20rocsparse_diag_type_20rocsparse_direction_.kd
    .uniform_work_group_size: 1
    .uses_dynamic_stack: false
    .vgpr_count:     15
    .vgpr_spill_count: 0
    .wavefront_size: 64
  - .args:
      - .offset:         0
        .size:           4
        .value_kind:     by_value
      - .offset:         4
        .size:           4
        .value_kind:     by_value
      - .address_space:  global
        .offset:         8
        .size:           8
        .value_kind:     global_buffer
      - .address_space:  global
        .offset:         16
        .size:           8
        .value_kind:     global_buffer
      - .address_space:  global
        .offset:         24
        .size:           8
        .value_kind:     global_buffer
      - .offset:         32
        .size:           4
        .value_kind:     by_value
      - .address_space:  global
        .offset:         40
        .size:           8
        .value_kind:     global_buffer
      - .offset:         48
        .size:           4
        .value_kind:     by_value
      - .address_space:  global
        .offset:         56
        .size:           8
        .value_kind:     global_buffer
      - .address_space:  global
        .offset:         64
        .size:           8
        .value_kind:     global_buffer
      - .address_space:  global
        .offset:         72
        .size:           8
        .value_kind:     global_buffer
      - .offset:         80
        .size:           4
        .value_kind:     by_value
      - .offset:         84
        .size:           4
        .value_kind:     by_value
      - .offset:         88
        .size:           4
        .value_kind:     by_value
    .group_segment_fixed_size: 0
    .kernarg_segment_align: 8
    .kernarg_segment_size: 92
    .language:       OpenCL C
    .language_version:
      - 2
      - 0
    .max_flat_workgroup_size: 1024
    .name:           _ZN9rocsparseL24bsrsm_upper_large_kernelILj1024ELj16ELb0EfEEviiPKiS2_PKT2_iPS3_iPiS2_S7_21rocsparse_index_base_20rocsparse_diag_type_20rocsparse_direction_
    .private_segment_fixed_size: 0
    .sgpr_count:     46
    .sgpr_spill_count: 0
    .symbol:         _ZN9rocsparseL24bsrsm_upper_large_kernelILj1024ELj16ELb0EfEEviiPKiS2_PKT2_iPS3_iPiS2_S7_21rocsparse_index_base_20rocsparse_diag_type_20rocsparse_direction_.kd
    .uniform_work_group_size: 1
    .uses_dynamic_stack: false
    .vgpr_count:     16
    .vgpr_spill_count: 0
    .wavefront_size: 64
  - .args:
      - .offset:         0
        .size:           4
        .value_kind:     by_value
      - .offset:         4
        .size:           4
        .value_kind:     by_value
      - .address_space:  global
        .offset:         8
        .size:           8
        .value_kind:     global_buffer
      - .address_space:  global
        .offset:         16
        .size:           8
        .value_kind:     global_buffer
      - .address_space:  global
        .offset:         24
        .size:           8
        .value_kind:     global_buffer
      - .offset:         32
        .size:           4
        .value_kind:     by_value
      - .address_space:  global
        .offset:         40
        .size:           8
        .value_kind:     global_buffer
      - .offset:         48
        .size:           4
        .value_kind:     by_value
      - .address_space:  global
        .offset:         56
        .size:           8
        .value_kind:     global_buffer
      - .address_space:  global
        .offset:         64
        .size:           8
        .value_kind:     global_buffer
      - .address_space:  global
        .offset:         72
        .size:           8
        .value_kind:     global_buffer
      - .offset:         80
        .size:           4
        .value_kind:     by_value
      - .offset:         84
        .size:           4
        .value_kind:     by_value
      - .offset:         88
        .size:           4
        .value_kind:     by_value
    .group_segment_fixed_size: 0
    .kernarg_segment_align: 8
    .kernarg_segment_size: 92
    .language:       OpenCL C
    .language_version:
      - 2
      - 0
    .max_flat_workgroup_size: 1024
    .name:           _ZN9rocsparseL24bsrsm_lower_large_kernelILj1024ELj16ELb0EfEEviiPKiS2_PKT2_iPS3_iPiS2_S7_21rocsparse_index_base_20rocsparse_diag_type_20rocsparse_direction_
    .private_segment_fixed_size: 0
    .sgpr_count:     46
    .sgpr_spill_count: 0
    .symbol:         _ZN9rocsparseL24bsrsm_lower_large_kernelILj1024ELj16ELb0EfEEviiPKiS2_PKT2_iPS3_iPiS2_S7_21rocsparse_index_base_20rocsparse_diag_type_20rocsparse_direction_.kd
    .uniform_work_group_size: 1
    .uses_dynamic_stack: false
    .vgpr_count:     16
    .vgpr_spill_count: 0
    .wavefront_size: 64
  - .args:
      - .offset:         0
        .size:           4
        .value_kind:     by_value
      - .offset:         4
        .size:           4
        .value_kind:     by_value
      - .offset:         8
        .size:           8
        .value_kind:     by_value
      - .address_space:  global
        .offset:         16
        .size:           8
        .value_kind:     global_buffer
      - .offset:         24
        .size:           8
        .value_kind:     by_value
      - .address_space:  global
        .offset:         32
        .size:           8
        .value_kind:     global_buffer
      - .offset:         40
        .size:           8
        .value_kind:     by_value
      - .offset:         48
        .size:           1
        .value_kind:     by_value
      - .offset:         56
        .size:           4
        .value_kind:     hidden_block_count_x
      - .offset:         60
        .size:           4
        .value_kind:     hidden_block_count_y
      - .offset:         64
        .size:           4
        .value_kind:     hidden_block_count_z
      - .offset:         68
        .size:           2
        .value_kind:     hidden_group_size_x
      - .offset:         70
        .size:           2
        .value_kind:     hidden_group_size_y
      - .offset:         72
        .size:           2
        .value_kind:     hidden_group_size_z
      - .offset:         74
        .size:           2
        .value_kind:     hidden_remainder_x
      - .offset:         76
        .size:           2
        .value_kind:     hidden_remainder_y
      - .offset:         78
        .size:           2
        .value_kind:     hidden_remainder_z
      - .offset:         96
        .size:           8
        .value_kind:     hidden_global_offset_x
      - .offset:         104
        .size:           8
        .value_kind:     hidden_global_offset_y
      - .offset:         112
        .size:           8
        .value_kind:     hidden_global_offset_z
      - .offset:         120
        .size:           2
        .value_kind:     hidden_grid_dims
    .group_segment_fixed_size: 0
    .kernarg_segment_align: 8
    .kernarg_segment_size: 312
    .language:       OpenCL C
    .language_version:
      - 2
      - 0
    .max_flat_workgroup_size: 1024
    .name:           _ZN9rocsparseL16bsrsm_copy_scaleILj1024EdEEviiNS_24const_host_device_scalarIT0_EEPKS2_lPS2_lb
    .private_segment_fixed_size: 0
    .sgpr_count:     20
    .sgpr_spill_count: 0
    .symbol:         _ZN9rocsparseL16bsrsm_copy_scaleILj1024EdEEviiNS_24const_host_device_scalarIT0_EEPKS2_lPS2_lb.kd
    .uniform_work_group_size: 1
    .uses_dynamic_stack: false
    .vgpr_count:     11
    .vgpr_spill_count: 0
    .wavefront_size: 64
  - .args:
      - .offset:         0
        .size:           4
        .value_kind:     by_value
      - .offset:         4
        .size:           4
        .value_kind:     by_value
      - .actual_access:  read_only
        .address_space:  global
        .offset:         8
        .size:           8
        .value_kind:     global_buffer
      - .actual_access:  read_only
        .address_space:  global
        .offset:         16
        .size:           8
        .value_kind:     global_buffer
      - .actual_access:  write_only
        .address_space:  global
        .offset:         24
        .size:           8
        .value_kind:     global_buffer
      - .offset:         32
        .size:           4
        .value_kind:     by_value
    .group_segment_fixed_size: 0
    .kernarg_segment_align: 8
    .kernarg_segment_size: 36
    .language:       OpenCL C
    .language_version:
      - 2
      - 0
    .max_flat_workgroup_size: 256
    .name:           _ZN9rocsparseL10bsr_gatherILj4ELj64ELj2EidEEv20rocsparse_direction_T2_PKS2_PKT3_PS5_S2_
    .private_segment_fixed_size: 0
    .sgpr_count:     22
    .sgpr_spill_count: 0
    .symbol:         _ZN9rocsparseL10bsr_gatherILj4ELj64ELj2EidEEv20rocsparse_direction_T2_PKS2_PKT3_PS5_S2_.kd
    .uniform_work_group_size: 1
    .uses_dynamic_stack: false
    .vgpr_count:     12
    .vgpr_spill_count: 0
    .wavefront_size: 64
  - .args:
      - .offset:         0
        .size:           4
        .value_kind:     by_value
      - .offset:         4
        .size:           4
        .value_kind:     by_value
      - .actual_access:  read_only
        .address_space:  global
        .offset:         8
        .size:           8
        .value_kind:     global_buffer
      - .actual_access:  read_only
        .address_space:  global
        .offset:         16
        .size:           8
        .value_kind:     global_buffer
      - .actual_access:  write_only
        .address_space:  global
        .offset:         24
        .size:           8
        .value_kind:     global_buffer
      - .offset:         32
        .size:           4
        .value_kind:     by_value
    .group_segment_fixed_size: 0
    .kernarg_segment_align: 8
    .kernarg_segment_size: 36
    .language:       OpenCL C
    .language_version:
      - 2
      - 0
    .max_flat_workgroup_size: 256
    .name:           _ZN9rocsparseL10bsr_gatherILj16ELj16ELj4EidEEv20rocsparse_direction_T2_PKS2_PKT3_PS5_S2_
    .private_segment_fixed_size: 0
    .sgpr_count:     22
    .sgpr_spill_count: 0
    .symbol:         _ZN9rocsparseL10bsr_gatherILj16ELj16ELj4EidEEv20rocsparse_direction_T2_PKS2_PKT3_PS5_S2_.kd
    .uniform_work_group_size: 1
    .uses_dynamic_stack: false
    .vgpr_count:     12
    .vgpr_spill_count: 0
    .wavefront_size: 64
  - .args:
      - .offset:         0
        .size:           4
        .value_kind:     by_value
      - .offset:         4
        .size:           4
        .value_kind:     by_value
      - .actual_access:  read_only
        .address_space:  global
        .offset:         8
        .size:           8
        .value_kind:     global_buffer
      - .actual_access:  read_only
        .address_space:  global
        .offset:         16
        .size:           8
        .value_kind:     global_buffer
      - .actual_access:  write_only
        .address_space:  global
        .offset:         24
        .size:           8
        .value_kind:     global_buffer
      - .offset:         32
        .size:           4
        .value_kind:     by_value
    .group_segment_fixed_size: 0
    .kernarg_segment_align: 8
    .kernarg_segment_size: 36
    .language:       OpenCL C
    .language_version:
      - 2
      - 0
    .max_flat_workgroup_size: 256
    .name:           _ZN9rocsparseL10bsr_gatherILj64ELj4ELj8EidEEv20rocsparse_direction_T2_PKS2_PKT3_PS5_S2_
    .private_segment_fixed_size: 0
    .sgpr_count:     22
    .sgpr_spill_count: 0
    .symbol:         _ZN9rocsparseL10bsr_gatherILj64ELj4ELj8EidEEv20rocsparse_direction_T2_PKS2_PKT3_PS5_S2_.kd
    .uniform_work_group_size: 1
    .uses_dynamic_stack: false
    .vgpr_count:     12
    .vgpr_spill_count: 0
    .wavefront_size: 64
  - .args:
      - .offset:         0
        .size:           4
        .value_kind:     by_value
      - .offset:         4
        .size:           4
        .value_kind:     by_value
      - .address_space:  global
        .offset:         8
        .size:           8
        .value_kind:     global_buffer
      - .address_space:  global
        .offset:         16
        .size:           8
        .value_kind:     global_buffer
      - .address_space:  global
        .offset:         24
        .size:           8
        .value_kind:     global_buffer
      - .offset:         32
        .size:           4
        .value_kind:     by_value
      - .address_space:  global
        .offset:         40
        .size:           8
        .value_kind:     global_buffer
      - .offset:         48
        .size:           4
        .value_kind:     by_value
      - .address_space:  global
        .offset:         56
        .size:           8
        .value_kind:     global_buffer
      - .address_space:  global
        .offset:         64
        .size:           8
        .value_kind:     global_buffer
      - .address_space:  global
        .offset:         72
        .size:           8
        .value_kind:     global_buffer
      - .offset:         80
        .size:           4
        .value_kind:     by_value
      - .offset:         84
        .size:           4
        .value_kind:     by_value
      - .offset:         88
        .size:           4
        .value_kind:     by_value
    .group_segment_fixed_size: 0
    .kernarg_segment_align: 8
    .kernarg_segment_size: 92
    .language:       OpenCL C
    .language_version:
      - 2
      - 0
    .max_flat_workgroup_size: 256
    .name:           _ZN9rocsparseL24bsrsm_upper_large_kernelILj256ELj16ELb1EdEEviiPKiS2_PKT2_iPS3_iPiS2_S7_21rocsparse_index_base_20rocsparse_diag_type_20rocsparse_direction_
    .private_segment_fixed_size: 0
    .sgpr_count:     46
    .sgpr_spill_count: 0
    .symbol:         _ZN9rocsparseL24bsrsm_upper_large_kernelILj256ELj16ELb1EdEEviiPKiS2_PKT2_iPS3_iPiS2_S7_21rocsparse_index_base_20rocsparse_diag_type_20rocsparse_direction_.kd
    .uniform_work_group_size: 1
    .uses_dynamic_stack: false
    .vgpr_count:     20
    .vgpr_spill_count: 0
    .wavefront_size: 64
  - .args:
      - .offset:         0
        .size:           4
        .value_kind:     by_value
      - .offset:         4
        .size:           4
        .value_kind:     by_value
      - .address_space:  global
        .offset:         8
        .size:           8
        .value_kind:     global_buffer
      - .address_space:  global
        .offset:         16
        .size:           8
        .value_kind:     global_buffer
      - .address_space:  global
        .offset:         24
        .size:           8
        .value_kind:     global_buffer
      - .offset:         32
        .size:           4
        .value_kind:     by_value
      - .address_space:  global
        .offset:         40
        .size:           8
        .value_kind:     global_buffer
      - .offset:         48
        .size:           4
        .value_kind:     by_value
      - .address_space:  global
        .offset:         56
        .size:           8
        .value_kind:     global_buffer
      - .address_space:  global
        .offset:         64
        .size:           8
        .value_kind:     global_buffer
      - .address_space:  global
        .offset:         72
        .size:           8
        .value_kind:     global_buffer
      - .offset:         80
        .size:           4
        .value_kind:     by_value
      - .offset:         84
        .size:           4
        .value_kind:     by_value
      - .offset:         88
        .size:           4
        .value_kind:     by_value
    .group_segment_fixed_size: 0
    .kernarg_segment_align: 8
    .kernarg_segment_size: 92
    .language:       OpenCL C
    .language_version:
      - 2
      - 0
    .max_flat_workgroup_size: 256
    .name:           _ZN9rocsparseL24bsrsm_lower_large_kernelILj256ELj16ELb1EdEEviiPKiS2_PKT2_iPS3_iPiS2_S7_21rocsparse_index_base_20rocsparse_diag_type_20rocsparse_direction_
    .private_segment_fixed_size: 0
    .sgpr_count:     46
    .sgpr_spill_count: 0
    .symbol:         _ZN9rocsparseL24bsrsm_lower_large_kernelILj256ELj16ELb1EdEEviiPKiS2_PKT2_iPS3_iPiS2_S7_21rocsparse_index_base_20rocsparse_diag_type_20rocsparse_direction_.kd
    .uniform_work_group_size: 1
    .uses_dynamic_stack: false
    .vgpr_count:     20
    .vgpr_spill_count: 0
    .wavefront_size: 64
  - .args:
      - .offset:         0
        .size:           4
        .value_kind:     by_value
      - .offset:         4
        .size:           4
        .value_kind:     by_value
      - .address_space:  global
        .offset:         8
        .size:           8
        .value_kind:     global_buffer
      - .address_space:  global
        .offset:         16
        .size:           8
        .value_kind:     global_buffer
      - .address_space:  global
        .offset:         24
        .size:           8
        .value_kind:     global_buffer
      - .offset:         32
        .size:           4
        .value_kind:     by_value
      - .address_space:  global
        .offset:         40
        .size:           8
        .value_kind:     global_buffer
      - .offset:         48
        .size:           4
        .value_kind:     by_value
      - .address_space:  global
        .offset:         56
        .size:           8
        .value_kind:     global_buffer
      - .address_space:  global
        .offset:         64
        .size:           8
        .value_kind:     global_buffer
      - .address_space:  global
        .offset:         72
        .size:           8
        .value_kind:     global_buffer
      - .offset:         80
        .size:           4
        .value_kind:     by_value
      - .offset:         84
        .size:           4
        .value_kind:     by_value
      - .offset:         88
        .size:           4
        .value_kind:     by_value
    .group_segment_fixed_size: 0
    .kernarg_segment_align: 8
    .kernarg_segment_size: 92
    .language:       OpenCL C
    .language_version:
      - 2
      - 0
    .max_flat_workgroup_size: 64
    .name:           _ZN9rocsparseL24bsrsm_upper_large_kernelILj64ELj16ELb0EdEEviiPKiS2_PKT2_iPS3_iPiS2_S7_21rocsparse_index_base_20rocsparse_diag_type_20rocsparse_direction_
    .private_segment_fixed_size: 0
    .sgpr_count:     46
    .sgpr_spill_count: 0
    .symbol:         _ZN9rocsparseL24bsrsm_upper_large_kernelILj64ELj16ELb0EdEEviiPKiS2_PKT2_iPS3_iPiS2_S7_21rocsparse_index_base_20rocsparse_diag_type_20rocsparse_direction_.kd
    .uniform_work_group_size: 1
    .uses_dynamic_stack: false
    .vgpr_count:     20
    .vgpr_spill_count: 0
    .wavefront_size: 64
  - .args:
      - .offset:         0
        .size:           4
        .value_kind:     by_value
      - .offset:         4
        .size:           4
        .value_kind:     by_value
      - .address_space:  global
        .offset:         8
        .size:           8
        .value_kind:     global_buffer
      - .address_space:  global
        .offset:         16
        .size:           8
        .value_kind:     global_buffer
      - .address_space:  global
        .offset:         24
        .size:           8
        .value_kind:     global_buffer
      - .offset:         32
        .size:           4
        .value_kind:     by_value
      - .address_space:  global
        .offset:         40
        .size:           8
        .value_kind:     global_buffer
      - .offset:         48
        .size:           4
        .value_kind:     by_value
      - .address_space:  global
        .offset:         56
        .size:           8
        .value_kind:     global_buffer
      - .address_space:  global
        .offset:         64
        .size:           8
        .value_kind:     global_buffer
      - .address_space:  global
        .offset:         72
        .size:           8
        .value_kind:     global_buffer
      - .offset:         80
        .size:           4
        .value_kind:     by_value
      - .offset:         84
        .size:           4
        .value_kind:     by_value
      - .offset:         88
        .size:           4
        .value_kind:     by_value
    .group_segment_fixed_size: 0
    .kernarg_segment_align: 8
    .kernarg_segment_size: 92
    .language:       OpenCL C
    .language_version:
      - 2
      - 0
    .max_flat_workgroup_size: 64
    .name:           _ZN9rocsparseL24bsrsm_lower_large_kernelILj64ELj16ELb0EdEEviiPKiS2_PKT2_iPS3_iPiS2_S7_21rocsparse_index_base_20rocsparse_diag_type_20rocsparse_direction_
    .private_segment_fixed_size: 0
    .sgpr_count:     46
    .sgpr_spill_count: 0
    .symbol:         _ZN9rocsparseL24bsrsm_lower_large_kernelILj64ELj16ELb0EdEEviiPKiS2_PKT2_iPS3_iPiS2_S7_21rocsparse_index_base_20rocsparse_diag_type_20rocsparse_direction_.kd
    .uniform_work_group_size: 1
    .uses_dynamic_stack: false
    .vgpr_count:     20
    .vgpr_spill_count: 0
    .wavefront_size: 64
  - .args:
      - .offset:         0
        .size:           4
        .value_kind:     by_value
      - .offset:         4
        .size:           4
        .value_kind:     by_value
      - .address_space:  global
        .offset:         8
        .size:           8
        .value_kind:     global_buffer
      - .address_space:  global
        .offset:         16
        .size:           8
        .value_kind:     global_buffer
      - .address_space:  global
        .offset:         24
        .size:           8
        .value_kind:     global_buffer
      - .offset:         32
        .size:           4
        .value_kind:     by_value
      - .address_space:  global
        .offset:         40
        .size:           8
        .value_kind:     global_buffer
      - .offset:         48
        .size:           4
        .value_kind:     by_value
      - .address_space:  global
        .offset:         56
        .size:           8
        .value_kind:     global_buffer
      - .address_space:  global
        .offset:         64
        .size:           8
        .value_kind:     global_buffer
      - .address_space:  global
        .offset:         72
        .size:           8
        .value_kind:     global_buffer
      - .offset:         80
        .size:           4
        .value_kind:     by_value
      - .offset:         84
        .size:           4
        .value_kind:     by_value
      - .offset:         88
        .size:           4
        .value_kind:     by_value
    .group_segment_fixed_size: 0
    .kernarg_segment_align: 8
    .kernarg_segment_size: 92
    .language:       OpenCL C
    .language_version:
      - 2
      - 0
    .max_flat_workgroup_size: 128
    .name:           _ZN9rocsparseL24bsrsm_upper_large_kernelILj128ELj16ELb0EdEEviiPKiS2_PKT2_iPS3_iPiS2_S7_21rocsparse_index_base_20rocsparse_diag_type_20rocsparse_direction_
    .private_segment_fixed_size: 0
    .sgpr_count:     46
    .sgpr_spill_count: 0
    .symbol:         _ZN9rocsparseL24bsrsm_upper_large_kernelILj128ELj16ELb0EdEEviiPKiS2_PKT2_iPS3_iPiS2_S7_21rocsparse_index_base_20rocsparse_diag_type_20rocsparse_direction_.kd
    .uniform_work_group_size: 1
    .uses_dynamic_stack: false
    .vgpr_count:     20
    .vgpr_spill_count: 0
    .wavefront_size: 64
  - .args:
      - .offset:         0
        .size:           4
        .value_kind:     by_value
      - .offset:         4
        .size:           4
        .value_kind:     by_value
      - .address_space:  global
        .offset:         8
        .size:           8
        .value_kind:     global_buffer
      - .address_space:  global
        .offset:         16
        .size:           8
        .value_kind:     global_buffer
      - .address_space:  global
        .offset:         24
        .size:           8
        .value_kind:     global_buffer
      - .offset:         32
        .size:           4
        .value_kind:     by_value
      - .address_space:  global
        .offset:         40
        .size:           8
        .value_kind:     global_buffer
      - .offset:         48
        .size:           4
        .value_kind:     by_value
      - .address_space:  global
        .offset:         56
        .size:           8
        .value_kind:     global_buffer
      - .address_space:  global
        .offset:         64
        .size:           8
        .value_kind:     global_buffer
      - .address_space:  global
        .offset:         72
        .size:           8
        .value_kind:     global_buffer
      - .offset:         80
        .size:           4
        .value_kind:     by_value
      - .offset:         84
        .size:           4
        .value_kind:     by_value
      - .offset:         88
        .size:           4
        .value_kind:     by_value
    .group_segment_fixed_size: 0
    .kernarg_segment_align: 8
    .kernarg_segment_size: 92
    .language:       OpenCL C
    .language_version:
      - 2
      - 0
    .max_flat_workgroup_size: 128
    .name:           _ZN9rocsparseL24bsrsm_lower_large_kernelILj128ELj16ELb0EdEEviiPKiS2_PKT2_iPS3_iPiS2_S7_21rocsparse_index_base_20rocsparse_diag_type_20rocsparse_direction_
    .private_segment_fixed_size: 0
    .sgpr_count:     46
    .sgpr_spill_count: 0
    .symbol:         _ZN9rocsparseL24bsrsm_lower_large_kernelILj128ELj16ELb0EdEEviiPKiS2_PKT2_iPS3_iPiS2_S7_21rocsparse_index_base_20rocsparse_diag_type_20rocsparse_direction_.kd
    .uniform_work_group_size: 1
    .uses_dynamic_stack: false
    .vgpr_count:     20
    .vgpr_spill_count: 0
    .wavefront_size: 64
  - .args:
      - .offset:         0
        .size:           4
        .value_kind:     by_value
      - .offset:         4
        .size:           4
        .value_kind:     by_value
      - .address_space:  global
        .offset:         8
        .size:           8
        .value_kind:     global_buffer
      - .address_space:  global
        .offset:         16
        .size:           8
        .value_kind:     global_buffer
      - .address_space:  global
        .offset:         24
        .size:           8
        .value_kind:     global_buffer
      - .offset:         32
        .size:           4
        .value_kind:     by_value
      - .address_space:  global
        .offset:         40
        .size:           8
        .value_kind:     global_buffer
      - .offset:         48
        .size:           4
        .value_kind:     by_value
      - .address_space:  global
        .offset:         56
        .size:           8
        .value_kind:     global_buffer
      - .address_space:  global
        .offset:         64
        .size:           8
        .value_kind:     global_buffer
      - .address_space:  global
        .offset:         72
        .size:           8
        .value_kind:     global_buffer
      - .offset:         80
        .size:           4
        .value_kind:     by_value
      - .offset:         84
        .size:           4
        .value_kind:     by_value
      - .offset:         88
        .size:           4
        .value_kind:     by_value
    .group_segment_fixed_size: 0
    .kernarg_segment_align: 8
    .kernarg_segment_size: 92
    .language:       OpenCL C
    .language_version:
      - 2
      - 0
    .max_flat_workgroup_size: 256
    .name:           _ZN9rocsparseL24bsrsm_upper_large_kernelILj256ELj16ELb0EdEEviiPKiS2_PKT2_iPS3_iPiS2_S7_21rocsparse_index_base_20rocsparse_diag_type_20rocsparse_direction_
    .private_segment_fixed_size: 0
    .sgpr_count:     46
    .sgpr_spill_count: 0
    .symbol:         _ZN9rocsparseL24bsrsm_upper_large_kernelILj256ELj16ELb0EdEEviiPKiS2_PKT2_iPS3_iPiS2_S7_21rocsparse_index_base_20rocsparse_diag_type_20rocsparse_direction_.kd
    .uniform_work_group_size: 1
    .uses_dynamic_stack: false
    .vgpr_count:     20
    .vgpr_spill_count: 0
    .wavefront_size: 64
  - .args:
      - .offset:         0
        .size:           4
        .value_kind:     by_value
      - .offset:         4
        .size:           4
        .value_kind:     by_value
      - .address_space:  global
        .offset:         8
        .size:           8
        .value_kind:     global_buffer
      - .address_space:  global
        .offset:         16
        .size:           8
        .value_kind:     global_buffer
      - .address_space:  global
        .offset:         24
        .size:           8
        .value_kind:     global_buffer
      - .offset:         32
        .size:           4
        .value_kind:     by_value
      - .address_space:  global
        .offset:         40
        .size:           8
        .value_kind:     global_buffer
      - .offset:         48
        .size:           4
        .value_kind:     by_value
      - .address_space:  global
        .offset:         56
        .size:           8
        .value_kind:     global_buffer
      - .address_space:  global
        .offset:         64
        .size:           8
        .value_kind:     global_buffer
      - .address_space:  global
        .offset:         72
        .size:           8
        .value_kind:     global_buffer
      - .offset:         80
        .size:           4
        .value_kind:     by_value
      - .offset:         84
        .size:           4
        .value_kind:     by_value
      - .offset:         88
        .size:           4
        .value_kind:     by_value
    .group_segment_fixed_size: 0
    .kernarg_segment_align: 8
    .kernarg_segment_size: 92
    .language:       OpenCL C
    .language_version:
      - 2
      - 0
    .max_flat_workgroup_size: 256
    .name:           _ZN9rocsparseL24bsrsm_lower_large_kernelILj256ELj16ELb0EdEEviiPKiS2_PKT2_iPS3_iPiS2_S7_21rocsparse_index_base_20rocsparse_diag_type_20rocsparse_direction_
    .private_segment_fixed_size: 0
    .sgpr_count:     46
    .sgpr_spill_count: 0
    .symbol:         _ZN9rocsparseL24bsrsm_lower_large_kernelILj256ELj16ELb0EdEEviiPKiS2_PKT2_iPS3_iPiS2_S7_21rocsparse_index_base_20rocsparse_diag_type_20rocsparse_direction_.kd
    .uniform_work_group_size: 1
    .uses_dynamic_stack: false
    .vgpr_count:     20
    .vgpr_spill_count: 0
    .wavefront_size: 64
  - .args:
      - .offset:         0
        .size:           4
        .value_kind:     by_value
      - .offset:         4
        .size:           4
        .value_kind:     by_value
      - .address_space:  global
        .offset:         8
        .size:           8
        .value_kind:     global_buffer
      - .address_space:  global
        .offset:         16
        .size:           8
        .value_kind:     global_buffer
      - .address_space:  global
        .offset:         24
        .size:           8
        .value_kind:     global_buffer
      - .offset:         32
        .size:           4
        .value_kind:     by_value
      - .address_space:  global
        .offset:         40
        .size:           8
        .value_kind:     global_buffer
      - .offset:         48
        .size:           4
        .value_kind:     by_value
      - .address_space:  global
        .offset:         56
        .size:           8
        .value_kind:     global_buffer
      - .address_space:  global
        .offset:         64
        .size:           8
        .value_kind:     global_buffer
      - .address_space:  global
        .offset:         72
        .size:           8
        .value_kind:     global_buffer
      - .offset:         80
        .size:           4
        .value_kind:     by_value
      - .offset:         84
        .size:           4
        .value_kind:     by_value
      - .offset:         88
        .size:           4
        .value_kind:     by_value
    .group_segment_fixed_size: 0
    .kernarg_segment_align: 8
    .kernarg_segment_size: 92
    .language:       OpenCL C
    .language_version:
      - 2
      - 0
    .max_flat_workgroup_size: 512
    .name:           _ZN9rocsparseL24bsrsm_upper_large_kernelILj512ELj16ELb0EdEEviiPKiS2_PKT2_iPS3_iPiS2_S7_21rocsparse_index_base_20rocsparse_diag_type_20rocsparse_direction_
    .private_segment_fixed_size: 0
    .sgpr_count:     46
    .sgpr_spill_count: 0
    .symbol:         _ZN9rocsparseL24bsrsm_upper_large_kernelILj512ELj16ELb0EdEEviiPKiS2_PKT2_iPS3_iPiS2_S7_21rocsparse_index_base_20rocsparse_diag_type_20rocsparse_direction_.kd
    .uniform_work_group_size: 1
    .uses_dynamic_stack: false
    .vgpr_count:     20
    .vgpr_spill_count: 0
    .wavefront_size: 64
  - .args:
      - .offset:         0
        .size:           4
        .value_kind:     by_value
      - .offset:         4
        .size:           4
        .value_kind:     by_value
      - .address_space:  global
        .offset:         8
        .size:           8
        .value_kind:     global_buffer
      - .address_space:  global
        .offset:         16
        .size:           8
        .value_kind:     global_buffer
      - .address_space:  global
        .offset:         24
        .size:           8
        .value_kind:     global_buffer
      - .offset:         32
        .size:           4
        .value_kind:     by_value
      - .address_space:  global
        .offset:         40
        .size:           8
        .value_kind:     global_buffer
      - .offset:         48
        .size:           4
        .value_kind:     by_value
      - .address_space:  global
        .offset:         56
        .size:           8
        .value_kind:     global_buffer
      - .address_space:  global
        .offset:         64
        .size:           8
        .value_kind:     global_buffer
      - .address_space:  global
        .offset:         72
        .size:           8
        .value_kind:     global_buffer
      - .offset:         80
        .size:           4
        .value_kind:     by_value
      - .offset:         84
        .size:           4
        .value_kind:     by_value
      - .offset:         88
        .size:           4
        .value_kind:     by_value
    .group_segment_fixed_size: 0
    .kernarg_segment_align: 8
    .kernarg_segment_size: 92
    .language:       OpenCL C
    .language_version:
      - 2
      - 0
    .max_flat_workgroup_size: 512
    .name:           _ZN9rocsparseL24bsrsm_lower_large_kernelILj512ELj16ELb0EdEEviiPKiS2_PKT2_iPS3_iPiS2_S7_21rocsparse_index_base_20rocsparse_diag_type_20rocsparse_direction_
    .private_segment_fixed_size: 0
    .sgpr_count:     46
    .sgpr_spill_count: 0
    .symbol:         _ZN9rocsparseL24bsrsm_lower_large_kernelILj512ELj16ELb0EdEEviiPKiS2_PKT2_iPS3_iPiS2_S7_21rocsparse_index_base_20rocsparse_diag_type_20rocsparse_direction_.kd
    .uniform_work_group_size: 1
    .uses_dynamic_stack: false
    .vgpr_count:     20
    .vgpr_spill_count: 0
    .wavefront_size: 64
  - .args:
      - .offset:         0
        .size:           4
        .value_kind:     by_value
      - .offset:         4
        .size:           4
        .value_kind:     by_value
      - .address_space:  global
        .offset:         8
        .size:           8
        .value_kind:     global_buffer
      - .address_space:  global
        .offset:         16
        .size:           8
        .value_kind:     global_buffer
      - .address_space:  global
        .offset:         24
        .size:           8
        .value_kind:     global_buffer
      - .offset:         32
        .size:           4
        .value_kind:     by_value
      - .address_space:  global
        .offset:         40
        .size:           8
        .value_kind:     global_buffer
      - .offset:         48
        .size:           4
        .value_kind:     by_value
      - .address_space:  global
        .offset:         56
        .size:           8
        .value_kind:     global_buffer
      - .address_space:  global
        .offset:         64
        .size:           8
        .value_kind:     global_buffer
      - .address_space:  global
        .offset:         72
        .size:           8
        .value_kind:     global_buffer
      - .offset:         80
        .size:           4
        .value_kind:     by_value
      - .offset:         84
        .size:           4
        .value_kind:     by_value
      - .offset:         88
        .size:           4
        .value_kind:     by_value
    .group_segment_fixed_size: 0
    .kernarg_segment_align: 8
    .kernarg_segment_size: 92
    .language:       OpenCL C
    .language_version:
      - 2
      - 0
    .max_flat_workgroup_size: 1024
    .name:           _ZN9rocsparseL24bsrsm_upper_large_kernelILj1024ELj16ELb0EdEEviiPKiS2_PKT2_iPS3_iPiS2_S7_21rocsparse_index_base_20rocsparse_diag_type_20rocsparse_direction_
    .private_segment_fixed_size: 0
    .sgpr_count:     46
    .sgpr_spill_count: 0
    .symbol:         _ZN9rocsparseL24bsrsm_upper_large_kernelILj1024ELj16ELb0EdEEviiPKiS2_PKT2_iPS3_iPiS2_S7_21rocsparse_index_base_20rocsparse_diag_type_20rocsparse_direction_.kd
    .uniform_work_group_size: 1
    .uses_dynamic_stack: false
    .vgpr_count:     20
    .vgpr_spill_count: 0
    .wavefront_size: 64
  - .args:
      - .offset:         0
        .size:           4
        .value_kind:     by_value
      - .offset:         4
        .size:           4
        .value_kind:     by_value
      - .address_space:  global
        .offset:         8
        .size:           8
        .value_kind:     global_buffer
      - .address_space:  global
        .offset:         16
        .size:           8
        .value_kind:     global_buffer
      - .address_space:  global
        .offset:         24
        .size:           8
        .value_kind:     global_buffer
      - .offset:         32
        .size:           4
        .value_kind:     by_value
      - .address_space:  global
        .offset:         40
        .size:           8
        .value_kind:     global_buffer
      - .offset:         48
        .size:           4
        .value_kind:     by_value
      - .address_space:  global
        .offset:         56
        .size:           8
        .value_kind:     global_buffer
      - .address_space:  global
        .offset:         64
        .size:           8
        .value_kind:     global_buffer
      - .address_space:  global
        .offset:         72
        .size:           8
        .value_kind:     global_buffer
      - .offset:         80
        .size:           4
        .value_kind:     by_value
      - .offset:         84
        .size:           4
        .value_kind:     by_value
      - .offset:         88
        .size:           4
        .value_kind:     by_value
    .group_segment_fixed_size: 0
    .kernarg_segment_align: 8
    .kernarg_segment_size: 92
    .language:       OpenCL C
    .language_version:
      - 2
      - 0
    .max_flat_workgroup_size: 1024
    .name:           _ZN9rocsparseL24bsrsm_lower_large_kernelILj1024ELj16ELb0EdEEviiPKiS2_PKT2_iPS3_iPiS2_S7_21rocsparse_index_base_20rocsparse_diag_type_20rocsparse_direction_
    .private_segment_fixed_size: 0
    .sgpr_count:     46
    .sgpr_spill_count: 0
    .symbol:         _ZN9rocsparseL24bsrsm_lower_large_kernelILj1024ELj16ELb0EdEEviiPKiS2_PKT2_iPS3_iPiS2_S7_21rocsparse_index_base_20rocsparse_diag_type_20rocsparse_direction_.kd
    .uniform_work_group_size: 1
    .uses_dynamic_stack: false
    .vgpr_count:     20
    .vgpr_spill_count: 0
    .wavefront_size: 64
  - .args:
      - .offset:         0
        .size:           4
        .value_kind:     by_value
      - .offset:         4
        .size:           4
        .value_kind:     by_value
      - .offset:         8
        .size:           8
        .value_kind:     by_value
      - .address_space:  global
        .offset:         16
        .size:           8
        .value_kind:     global_buffer
      - .offset:         24
        .size:           8
        .value_kind:     by_value
      - .address_space:  global
        .offset:         32
        .size:           8
        .value_kind:     global_buffer
      - .offset:         40
        .size:           8
        .value_kind:     by_value
      - .offset:         48
        .size:           1
        .value_kind:     by_value
      - .offset:         56
        .size:           4
        .value_kind:     hidden_block_count_x
      - .offset:         60
        .size:           4
        .value_kind:     hidden_block_count_y
      - .offset:         64
        .size:           4
        .value_kind:     hidden_block_count_z
      - .offset:         68
        .size:           2
        .value_kind:     hidden_group_size_x
      - .offset:         70
        .size:           2
        .value_kind:     hidden_group_size_y
      - .offset:         72
        .size:           2
        .value_kind:     hidden_group_size_z
      - .offset:         74
        .size:           2
        .value_kind:     hidden_remainder_x
      - .offset:         76
        .size:           2
        .value_kind:     hidden_remainder_y
      - .offset:         78
        .size:           2
        .value_kind:     hidden_remainder_z
      - .offset:         96
        .size:           8
        .value_kind:     hidden_global_offset_x
      - .offset:         104
        .size:           8
        .value_kind:     hidden_global_offset_y
      - .offset:         112
        .size:           8
        .value_kind:     hidden_global_offset_z
      - .offset:         120
        .size:           2
        .value_kind:     hidden_grid_dims
    .group_segment_fixed_size: 0
    .kernarg_segment_align: 8
    .kernarg_segment_size: 312
    .language:       OpenCL C
    .language_version:
      - 2
      - 0
    .max_flat_workgroup_size: 1024
    .name:           _ZN9rocsparseL16bsrsm_copy_scaleILj1024E21rocsparse_complex_numIfEEEviiNS_24const_host_device_scalarIT0_EEPKS4_lPS4_lb
    .private_segment_fixed_size: 0
    .sgpr_count:     22
    .sgpr_spill_count: 0
    .symbol:         _ZN9rocsparseL16bsrsm_copy_scaleILj1024E21rocsparse_complex_numIfEEEviiNS_24const_host_device_scalarIT0_EEPKS4_lPS4_lb.kd
    .uniform_work_group_size: 1
    .uses_dynamic_stack: false
    .vgpr_count:     8
    .vgpr_spill_count: 0
    .wavefront_size: 64
  - .args:
      - .offset:         0
        .size:           4
        .value_kind:     by_value
      - .offset:         4
        .size:           4
        .value_kind:     by_value
      - .actual_access:  read_only
        .address_space:  global
        .offset:         8
        .size:           8
        .value_kind:     global_buffer
      - .actual_access:  read_only
        .address_space:  global
        .offset:         16
        .size:           8
        .value_kind:     global_buffer
      - .actual_access:  write_only
        .address_space:  global
        .offset:         24
        .size:           8
        .value_kind:     global_buffer
      - .offset:         32
        .size:           4
        .value_kind:     by_value
    .group_segment_fixed_size: 0
    .kernarg_segment_align: 8
    .kernarg_segment_size: 36
    .language:       OpenCL C
    .language_version:
      - 2
      - 0
    .max_flat_workgroup_size: 256
    .name:           _ZN9rocsparseL10bsr_gatherILj4ELj64ELj2Ei21rocsparse_complex_numIfEEEv20rocsparse_direction_T2_PKS4_PKT3_PS7_S4_
    .private_segment_fixed_size: 0
    .sgpr_count:     22
    .sgpr_spill_count: 0
    .symbol:         _ZN9rocsparseL10bsr_gatherILj4ELj64ELj2Ei21rocsparse_complex_numIfEEEv20rocsparse_direction_T2_PKS4_PKT3_PS7_S4_.kd
    .uniform_work_group_size: 1
    .uses_dynamic_stack: false
    .vgpr_count:     12
    .vgpr_spill_count: 0
    .wavefront_size: 64
  - .args:
      - .offset:         0
        .size:           4
        .value_kind:     by_value
      - .offset:         4
        .size:           4
        .value_kind:     by_value
      - .actual_access:  read_only
        .address_space:  global
        .offset:         8
        .size:           8
        .value_kind:     global_buffer
      - .actual_access:  read_only
        .address_space:  global
        .offset:         16
        .size:           8
        .value_kind:     global_buffer
      - .actual_access:  write_only
        .address_space:  global
        .offset:         24
        .size:           8
        .value_kind:     global_buffer
      - .offset:         32
        .size:           4
        .value_kind:     by_value
    .group_segment_fixed_size: 0
    .kernarg_segment_align: 8
    .kernarg_segment_size: 36
    .language:       OpenCL C
    .language_version:
      - 2
      - 0
    .max_flat_workgroup_size: 256
    .name:           _ZN9rocsparseL10bsr_gatherILj16ELj16ELj4Ei21rocsparse_complex_numIfEEEv20rocsparse_direction_T2_PKS4_PKT3_PS7_S4_
    .private_segment_fixed_size: 0
    .sgpr_count:     22
    .sgpr_spill_count: 0
    .symbol:         _ZN9rocsparseL10bsr_gatherILj16ELj16ELj4Ei21rocsparse_complex_numIfEEEv20rocsparse_direction_T2_PKS4_PKT3_PS7_S4_.kd
    .uniform_work_group_size: 1
    .uses_dynamic_stack: false
    .vgpr_count:     12
    .vgpr_spill_count: 0
    .wavefront_size: 64
  - .args:
      - .offset:         0
        .size:           4
        .value_kind:     by_value
      - .offset:         4
        .size:           4
        .value_kind:     by_value
      - .actual_access:  read_only
        .address_space:  global
        .offset:         8
        .size:           8
        .value_kind:     global_buffer
      - .actual_access:  read_only
        .address_space:  global
        .offset:         16
        .size:           8
        .value_kind:     global_buffer
      - .actual_access:  write_only
        .address_space:  global
        .offset:         24
        .size:           8
        .value_kind:     global_buffer
      - .offset:         32
        .size:           4
        .value_kind:     by_value
    .group_segment_fixed_size: 0
    .kernarg_segment_align: 8
    .kernarg_segment_size: 36
    .language:       OpenCL C
    .language_version:
      - 2
      - 0
    .max_flat_workgroup_size: 256
    .name:           _ZN9rocsparseL10bsr_gatherILj64ELj4ELj8Ei21rocsparse_complex_numIfEEEv20rocsparse_direction_T2_PKS4_PKT3_PS7_S4_
    .private_segment_fixed_size: 0
    .sgpr_count:     22
    .sgpr_spill_count: 0
    .symbol:         _ZN9rocsparseL10bsr_gatherILj64ELj4ELj8Ei21rocsparse_complex_numIfEEEv20rocsparse_direction_T2_PKS4_PKT3_PS7_S4_.kd
    .uniform_work_group_size: 1
    .uses_dynamic_stack: false
    .vgpr_count:     12
    .vgpr_spill_count: 0
    .wavefront_size: 64
  - .args:
      - .offset:         0
        .size:           4
        .value_kind:     by_value
      - .offset:         4
        .size:           4
        .value_kind:     by_value
      - .address_space:  global
        .offset:         8
        .size:           8
        .value_kind:     global_buffer
      - .address_space:  global
        .offset:         16
        .size:           8
        .value_kind:     global_buffer
      - .address_space:  global
        .offset:         24
        .size:           8
        .value_kind:     global_buffer
      - .offset:         32
        .size:           4
        .value_kind:     by_value
      - .address_space:  global
        .offset:         40
        .size:           8
        .value_kind:     global_buffer
      - .offset:         48
        .size:           4
        .value_kind:     by_value
      - .address_space:  global
        .offset:         56
        .size:           8
        .value_kind:     global_buffer
      - .address_space:  global
        .offset:         64
        .size:           8
        .value_kind:     global_buffer
      - .address_space:  global
        .offset:         72
        .size:           8
        .value_kind:     global_buffer
      - .offset:         80
        .size:           4
        .value_kind:     by_value
      - .offset:         84
        .size:           4
        .value_kind:     by_value
      - .offset:         88
        .size:           4
        .value_kind:     by_value
    .group_segment_fixed_size: 0
    .kernarg_segment_align: 8
    .kernarg_segment_size: 92
    .language:       OpenCL C
    .language_version:
      - 2
      - 0
    .max_flat_workgroup_size: 256
    .name:           _ZN9rocsparseL24bsrsm_upper_large_kernelILj256ELj16ELb1E21rocsparse_complex_numIfEEEviiPKiS4_PKT2_iPS5_iPiS4_S9_21rocsparse_index_base_20rocsparse_diag_type_20rocsparse_direction_
    .private_segment_fixed_size: 0
    .sgpr_count:     46
    .sgpr_spill_count: 0
    .symbol:         _ZN9rocsparseL24bsrsm_upper_large_kernelILj256ELj16ELb1E21rocsparse_complex_numIfEEEviiPKiS4_PKT2_iPS5_iPiS4_S9_21rocsparse_index_base_20rocsparse_diag_type_20rocsparse_direction_.kd
    .uniform_work_group_size: 1
    .uses_dynamic_stack: false
    .vgpr_count:     18
    .vgpr_spill_count: 0
    .wavefront_size: 64
  - .args:
      - .offset:         0
        .size:           4
        .value_kind:     by_value
      - .offset:         4
        .size:           4
        .value_kind:     by_value
      - .address_space:  global
        .offset:         8
        .size:           8
        .value_kind:     global_buffer
      - .address_space:  global
        .offset:         16
        .size:           8
        .value_kind:     global_buffer
      - .address_space:  global
        .offset:         24
        .size:           8
        .value_kind:     global_buffer
      - .offset:         32
        .size:           4
        .value_kind:     by_value
      - .address_space:  global
        .offset:         40
        .size:           8
        .value_kind:     global_buffer
      - .offset:         48
        .size:           4
        .value_kind:     by_value
      - .address_space:  global
        .offset:         56
        .size:           8
        .value_kind:     global_buffer
      - .address_space:  global
        .offset:         64
        .size:           8
        .value_kind:     global_buffer
      - .address_space:  global
        .offset:         72
        .size:           8
        .value_kind:     global_buffer
      - .offset:         80
        .size:           4
        .value_kind:     by_value
      - .offset:         84
        .size:           4
        .value_kind:     by_value
      - .offset:         88
        .size:           4
        .value_kind:     by_value
    .group_segment_fixed_size: 0
    .kernarg_segment_align: 8
    .kernarg_segment_size: 92
    .language:       OpenCL C
    .language_version:
      - 2
      - 0
    .max_flat_workgroup_size: 256
    .name:           _ZN9rocsparseL24bsrsm_lower_large_kernelILj256ELj16ELb1E21rocsparse_complex_numIfEEEviiPKiS4_PKT2_iPS5_iPiS4_S9_21rocsparse_index_base_20rocsparse_diag_type_20rocsparse_direction_
    .private_segment_fixed_size: 0
    .sgpr_count:     46
    .sgpr_spill_count: 0
    .symbol:         _ZN9rocsparseL24bsrsm_lower_large_kernelILj256ELj16ELb1E21rocsparse_complex_numIfEEEviiPKiS4_PKT2_iPS5_iPiS4_S9_21rocsparse_index_base_20rocsparse_diag_type_20rocsparse_direction_.kd
    .uniform_work_group_size: 1
    .uses_dynamic_stack: false
    .vgpr_count:     18
    .vgpr_spill_count: 0
    .wavefront_size: 64
  - .args:
      - .offset:         0
        .size:           4
        .value_kind:     by_value
      - .offset:         4
        .size:           4
        .value_kind:     by_value
      - .address_space:  global
        .offset:         8
        .size:           8
        .value_kind:     global_buffer
      - .address_space:  global
        .offset:         16
        .size:           8
        .value_kind:     global_buffer
      - .address_space:  global
        .offset:         24
        .size:           8
        .value_kind:     global_buffer
      - .offset:         32
        .size:           4
        .value_kind:     by_value
      - .address_space:  global
        .offset:         40
        .size:           8
        .value_kind:     global_buffer
      - .offset:         48
        .size:           4
        .value_kind:     by_value
      - .address_space:  global
        .offset:         56
        .size:           8
        .value_kind:     global_buffer
      - .address_space:  global
        .offset:         64
        .size:           8
        .value_kind:     global_buffer
      - .address_space:  global
        .offset:         72
        .size:           8
        .value_kind:     global_buffer
      - .offset:         80
        .size:           4
        .value_kind:     by_value
      - .offset:         84
        .size:           4
        .value_kind:     by_value
      - .offset:         88
        .size:           4
        .value_kind:     by_value
    .group_segment_fixed_size: 0
    .kernarg_segment_align: 8
    .kernarg_segment_size: 92
    .language:       OpenCL C
    .language_version:
      - 2
      - 0
    .max_flat_workgroup_size: 64
    .name:           _ZN9rocsparseL24bsrsm_upper_large_kernelILj64ELj16ELb0E21rocsparse_complex_numIfEEEviiPKiS4_PKT2_iPS5_iPiS4_S9_21rocsparse_index_base_20rocsparse_diag_type_20rocsparse_direction_
    .private_segment_fixed_size: 0
    .sgpr_count:     46
    .sgpr_spill_count: 0
    .symbol:         _ZN9rocsparseL24bsrsm_upper_large_kernelILj64ELj16ELb0E21rocsparse_complex_numIfEEEviiPKiS4_PKT2_iPS5_iPiS4_S9_21rocsparse_index_base_20rocsparse_diag_type_20rocsparse_direction_.kd
    .uniform_work_group_size: 1
    .uses_dynamic_stack: false
    .vgpr_count:     18
    .vgpr_spill_count: 0
    .wavefront_size: 64
  - .args:
      - .offset:         0
        .size:           4
        .value_kind:     by_value
      - .offset:         4
        .size:           4
        .value_kind:     by_value
      - .address_space:  global
        .offset:         8
        .size:           8
        .value_kind:     global_buffer
      - .address_space:  global
        .offset:         16
        .size:           8
        .value_kind:     global_buffer
      - .address_space:  global
        .offset:         24
        .size:           8
        .value_kind:     global_buffer
      - .offset:         32
        .size:           4
        .value_kind:     by_value
      - .address_space:  global
        .offset:         40
        .size:           8
        .value_kind:     global_buffer
      - .offset:         48
        .size:           4
        .value_kind:     by_value
      - .address_space:  global
        .offset:         56
        .size:           8
        .value_kind:     global_buffer
      - .address_space:  global
        .offset:         64
        .size:           8
        .value_kind:     global_buffer
      - .address_space:  global
        .offset:         72
        .size:           8
        .value_kind:     global_buffer
      - .offset:         80
        .size:           4
        .value_kind:     by_value
      - .offset:         84
        .size:           4
        .value_kind:     by_value
      - .offset:         88
        .size:           4
        .value_kind:     by_value
    .group_segment_fixed_size: 0
    .kernarg_segment_align: 8
    .kernarg_segment_size: 92
    .language:       OpenCL C
    .language_version:
      - 2
      - 0
    .max_flat_workgroup_size: 64
    .name:           _ZN9rocsparseL24bsrsm_lower_large_kernelILj64ELj16ELb0E21rocsparse_complex_numIfEEEviiPKiS4_PKT2_iPS5_iPiS4_S9_21rocsparse_index_base_20rocsparse_diag_type_20rocsparse_direction_
    .private_segment_fixed_size: 0
    .sgpr_count:     46
    .sgpr_spill_count: 0
    .symbol:         _ZN9rocsparseL24bsrsm_lower_large_kernelILj64ELj16ELb0E21rocsparse_complex_numIfEEEviiPKiS4_PKT2_iPS5_iPiS4_S9_21rocsparse_index_base_20rocsparse_diag_type_20rocsparse_direction_.kd
    .uniform_work_group_size: 1
    .uses_dynamic_stack: false
    .vgpr_count:     18
    .vgpr_spill_count: 0
    .wavefront_size: 64
  - .args:
      - .offset:         0
        .size:           4
        .value_kind:     by_value
      - .offset:         4
        .size:           4
        .value_kind:     by_value
      - .address_space:  global
        .offset:         8
        .size:           8
        .value_kind:     global_buffer
      - .address_space:  global
        .offset:         16
        .size:           8
        .value_kind:     global_buffer
      - .address_space:  global
        .offset:         24
        .size:           8
        .value_kind:     global_buffer
      - .offset:         32
        .size:           4
        .value_kind:     by_value
      - .address_space:  global
        .offset:         40
        .size:           8
        .value_kind:     global_buffer
      - .offset:         48
        .size:           4
        .value_kind:     by_value
      - .address_space:  global
        .offset:         56
        .size:           8
        .value_kind:     global_buffer
      - .address_space:  global
        .offset:         64
        .size:           8
        .value_kind:     global_buffer
      - .address_space:  global
        .offset:         72
        .size:           8
        .value_kind:     global_buffer
      - .offset:         80
        .size:           4
        .value_kind:     by_value
      - .offset:         84
        .size:           4
        .value_kind:     by_value
      - .offset:         88
        .size:           4
        .value_kind:     by_value
    .group_segment_fixed_size: 0
    .kernarg_segment_align: 8
    .kernarg_segment_size: 92
    .language:       OpenCL C
    .language_version:
      - 2
      - 0
    .max_flat_workgroup_size: 128
    .name:           _ZN9rocsparseL24bsrsm_upper_large_kernelILj128ELj16ELb0E21rocsparse_complex_numIfEEEviiPKiS4_PKT2_iPS5_iPiS4_S9_21rocsparse_index_base_20rocsparse_diag_type_20rocsparse_direction_
    .private_segment_fixed_size: 0
    .sgpr_count:     46
    .sgpr_spill_count: 0
    .symbol:         _ZN9rocsparseL24bsrsm_upper_large_kernelILj128ELj16ELb0E21rocsparse_complex_numIfEEEviiPKiS4_PKT2_iPS5_iPiS4_S9_21rocsparse_index_base_20rocsparse_diag_type_20rocsparse_direction_.kd
    .uniform_work_group_size: 1
    .uses_dynamic_stack: false
    .vgpr_count:     18
    .vgpr_spill_count: 0
    .wavefront_size: 64
  - .args:
      - .offset:         0
        .size:           4
        .value_kind:     by_value
      - .offset:         4
        .size:           4
        .value_kind:     by_value
      - .address_space:  global
        .offset:         8
        .size:           8
        .value_kind:     global_buffer
      - .address_space:  global
        .offset:         16
        .size:           8
        .value_kind:     global_buffer
      - .address_space:  global
        .offset:         24
        .size:           8
        .value_kind:     global_buffer
      - .offset:         32
        .size:           4
        .value_kind:     by_value
      - .address_space:  global
        .offset:         40
        .size:           8
        .value_kind:     global_buffer
      - .offset:         48
        .size:           4
        .value_kind:     by_value
      - .address_space:  global
        .offset:         56
        .size:           8
        .value_kind:     global_buffer
      - .address_space:  global
        .offset:         64
        .size:           8
        .value_kind:     global_buffer
      - .address_space:  global
        .offset:         72
        .size:           8
        .value_kind:     global_buffer
      - .offset:         80
        .size:           4
        .value_kind:     by_value
      - .offset:         84
        .size:           4
        .value_kind:     by_value
      - .offset:         88
        .size:           4
        .value_kind:     by_value
    .group_segment_fixed_size: 0
    .kernarg_segment_align: 8
    .kernarg_segment_size: 92
    .language:       OpenCL C
    .language_version:
      - 2
      - 0
    .max_flat_workgroup_size: 128
    .name:           _ZN9rocsparseL24bsrsm_lower_large_kernelILj128ELj16ELb0E21rocsparse_complex_numIfEEEviiPKiS4_PKT2_iPS5_iPiS4_S9_21rocsparse_index_base_20rocsparse_diag_type_20rocsparse_direction_
    .private_segment_fixed_size: 0
    .sgpr_count:     46
    .sgpr_spill_count: 0
    .symbol:         _ZN9rocsparseL24bsrsm_lower_large_kernelILj128ELj16ELb0E21rocsparse_complex_numIfEEEviiPKiS4_PKT2_iPS5_iPiS4_S9_21rocsparse_index_base_20rocsparse_diag_type_20rocsparse_direction_.kd
    .uniform_work_group_size: 1
    .uses_dynamic_stack: false
    .vgpr_count:     18
    .vgpr_spill_count: 0
    .wavefront_size: 64
  - .args:
      - .offset:         0
        .size:           4
        .value_kind:     by_value
      - .offset:         4
        .size:           4
        .value_kind:     by_value
      - .address_space:  global
        .offset:         8
        .size:           8
        .value_kind:     global_buffer
      - .address_space:  global
        .offset:         16
        .size:           8
        .value_kind:     global_buffer
      - .address_space:  global
        .offset:         24
        .size:           8
        .value_kind:     global_buffer
      - .offset:         32
        .size:           4
        .value_kind:     by_value
      - .address_space:  global
        .offset:         40
        .size:           8
        .value_kind:     global_buffer
      - .offset:         48
        .size:           4
        .value_kind:     by_value
      - .address_space:  global
        .offset:         56
        .size:           8
        .value_kind:     global_buffer
      - .address_space:  global
        .offset:         64
        .size:           8
        .value_kind:     global_buffer
      - .address_space:  global
        .offset:         72
        .size:           8
        .value_kind:     global_buffer
      - .offset:         80
        .size:           4
        .value_kind:     by_value
      - .offset:         84
        .size:           4
        .value_kind:     by_value
      - .offset:         88
        .size:           4
        .value_kind:     by_value
    .group_segment_fixed_size: 0
    .kernarg_segment_align: 8
    .kernarg_segment_size: 92
    .language:       OpenCL C
    .language_version:
      - 2
      - 0
    .max_flat_workgroup_size: 256
    .name:           _ZN9rocsparseL24bsrsm_upper_large_kernelILj256ELj16ELb0E21rocsparse_complex_numIfEEEviiPKiS4_PKT2_iPS5_iPiS4_S9_21rocsparse_index_base_20rocsparse_diag_type_20rocsparse_direction_
    .private_segment_fixed_size: 0
    .sgpr_count:     46
    .sgpr_spill_count: 0
    .symbol:         _ZN9rocsparseL24bsrsm_upper_large_kernelILj256ELj16ELb0E21rocsparse_complex_numIfEEEviiPKiS4_PKT2_iPS5_iPiS4_S9_21rocsparse_index_base_20rocsparse_diag_type_20rocsparse_direction_.kd
    .uniform_work_group_size: 1
    .uses_dynamic_stack: false
    .vgpr_count:     18
    .vgpr_spill_count: 0
    .wavefront_size: 64
  - .args:
      - .offset:         0
        .size:           4
        .value_kind:     by_value
      - .offset:         4
        .size:           4
        .value_kind:     by_value
      - .address_space:  global
        .offset:         8
        .size:           8
        .value_kind:     global_buffer
      - .address_space:  global
        .offset:         16
        .size:           8
        .value_kind:     global_buffer
      - .address_space:  global
        .offset:         24
        .size:           8
        .value_kind:     global_buffer
      - .offset:         32
        .size:           4
        .value_kind:     by_value
      - .address_space:  global
        .offset:         40
        .size:           8
        .value_kind:     global_buffer
      - .offset:         48
        .size:           4
        .value_kind:     by_value
      - .address_space:  global
        .offset:         56
        .size:           8
        .value_kind:     global_buffer
      - .address_space:  global
        .offset:         64
        .size:           8
        .value_kind:     global_buffer
      - .address_space:  global
        .offset:         72
        .size:           8
        .value_kind:     global_buffer
      - .offset:         80
        .size:           4
        .value_kind:     by_value
      - .offset:         84
        .size:           4
        .value_kind:     by_value
      - .offset:         88
        .size:           4
        .value_kind:     by_value
    .group_segment_fixed_size: 0
    .kernarg_segment_align: 8
    .kernarg_segment_size: 92
    .language:       OpenCL C
    .language_version:
      - 2
      - 0
    .max_flat_workgroup_size: 256
    .name:           _ZN9rocsparseL24bsrsm_lower_large_kernelILj256ELj16ELb0E21rocsparse_complex_numIfEEEviiPKiS4_PKT2_iPS5_iPiS4_S9_21rocsparse_index_base_20rocsparse_diag_type_20rocsparse_direction_
    .private_segment_fixed_size: 0
    .sgpr_count:     46
    .sgpr_spill_count: 0
    .symbol:         _ZN9rocsparseL24bsrsm_lower_large_kernelILj256ELj16ELb0E21rocsparse_complex_numIfEEEviiPKiS4_PKT2_iPS5_iPiS4_S9_21rocsparse_index_base_20rocsparse_diag_type_20rocsparse_direction_.kd
    .uniform_work_group_size: 1
    .uses_dynamic_stack: false
    .vgpr_count:     18
    .vgpr_spill_count: 0
    .wavefront_size: 64
  - .args:
      - .offset:         0
        .size:           4
        .value_kind:     by_value
      - .offset:         4
        .size:           4
        .value_kind:     by_value
      - .address_space:  global
        .offset:         8
        .size:           8
        .value_kind:     global_buffer
      - .address_space:  global
        .offset:         16
        .size:           8
        .value_kind:     global_buffer
      - .address_space:  global
        .offset:         24
        .size:           8
        .value_kind:     global_buffer
      - .offset:         32
        .size:           4
        .value_kind:     by_value
      - .address_space:  global
        .offset:         40
        .size:           8
        .value_kind:     global_buffer
      - .offset:         48
        .size:           4
        .value_kind:     by_value
      - .address_space:  global
        .offset:         56
        .size:           8
        .value_kind:     global_buffer
      - .address_space:  global
        .offset:         64
        .size:           8
        .value_kind:     global_buffer
      - .address_space:  global
        .offset:         72
        .size:           8
        .value_kind:     global_buffer
      - .offset:         80
        .size:           4
        .value_kind:     by_value
      - .offset:         84
        .size:           4
        .value_kind:     by_value
      - .offset:         88
        .size:           4
        .value_kind:     by_value
    .group_segment_fixed_size: 0
    .kernarg_segment_align: 8
    .kernarg_segment_size: 92
    .language:       OpenCL C
    .language_version:
      - 2
      - 0
    .max_flat_workgroup_size: 512
    .name:           _ZN9rocsparseL24bsrsm_upper_large_kernelILj512ELj16ELb0E21rocsparse_complex_numIfEEEviiPKiS4_PKT2_iPS5_iPiS4_S9_21rocsparse_index_base_20rocsparse_diag_type_20rocsparse_direction_
    .private_segment_fixed_size: 0
    .sgpr_count:     46
    .sgpr_spill_count: 0
    .symbol:         _ZN9rocsparseL24bsrsm_upper_large_kernelILj512ELj16ELb0E21rocsparse_complex_numIfEEEviiPKiS4_PKT2_iPS5_iPiS4_S9_21rocsparse_index_base_20rocsparse_diag_type_20rocsparse_direction_.kd
    .uniform_work_group_size: 1
    .uses_dynamic_stack: false
    .vgpr_count:     18
    .vgpr_spill_count: 0
    .wavefront_size: 64
  - .args:
      - .offset:         0
        .size:           4
        .value_kind:     by_value
      - .offset:         4
        .size:           4
        .value_kind:     by_value
      - .address_space:  global
        .offset:         8
        .size:           8
        .value_kind:     global_buffer
      - .address_space:  global
        .offset:         16
        .size:           8
        .value_kind:     global_buffer
      - .address_space:  global
        .offset:         24
        .size:           8
        .value_kind:     global_buffer
      - .offset:         32
        .size:           4
        .value_kind:     by_value
      - .address_space:  global
        .offset:         40
        .size:           8
        .value_kind:     global_buffer
      - .offset:         48
        .size:           4
        .value_kind:     by_value
      - .address_space:  global
        .offset:         56
        .size:           8
        .value_kind:     global_buffer
      - .address_space:  global
        .offset:         64
        .size:           8
        .value_kind:     global_buffer
      - .address_space:  global
        .offset:         72
        .size:           8
        .value_kind:     global_buffer
      - .offset:         80
        .size:           4
        .value_kind:     by_value
      - .offset:         84
        .size:           4
        .value_kind:     by_value
      - .offset:         88
        .size:           4
        .value_kind:     by_value
    .group_segment_fixed_size: 0
    .kernarg_segment_align: 8
    .kernarg_segment_size: 92
    .language:       OpenCL C
    .language_version:
      - 2
      - 0
    .max_flat_workgroup_size: 512
    .name:           _ZN9rocsparseL24bsrsm_lower_large_kernelILj512ELj16ELb0E21rocsparse_complex_numIfEEEviiPKiS4_PKT2_iPS5_iPiS4_S9_21rocsparse_index_base_20rocsparse_diag_type_20rocsparse_direction_
    .private_segment_fixed_size: 0
    .sgpr_count:     46
    .sgpr_spill_count: 0
    .symbol:         _ZN9rocsparseL24bsrsm_lower_large_kernelILj512ELj16ELb0E21rocsparse_complex_numIfEEEviiPKiS4_PKT2_iPS5_iPiS4_S9_21rocsparse_index_base_20rocsparse_diag_type_20rocsparse_direction_.kd
    .uniform_work_group_size: 1
    .uses_dynamic_stack: false
    .vgpr_count:     18
    .vgpr_spill_count: 0
    .wavefront_size: 64
  - .args:
      - .offset:         0
        .size:           4
        .value_kind:     by_value
      - .offset:         4
        .size:           4
        .value_kind:     by_value
      - .address_space:  global
        .offset:         8
        .size:           8
        .value_kind:     global_buffer
      - .address_space:  global
        .offset:         16
        .size:           8
        .value_kind:     global_buffer
      - .address_space:  global
        .offset:         24
        .size:           8
        .value_kind:     global_buffer
      - .offset:         32
        .size:           4
        .value_kind:     by_value
      - .address_space:  global
        .offset:         40
        .size:           8
        .value_kind:     global_buffer
      - .offset:         48
        .size:           4
        .value_kind:     by_value
      - .address_space:  global
        .offset:         56
        .size:           8
        .value_kind:     global_buffer
      - .address_space:  global
        .offset:         64
        .size:           8
        .value_kind:     global_buffer
      - .address_space:  global
        .offset:         72
        .size:           8
        .value_kind:     global_buffer
      - .offset:         80
        .size:           4
        .value_kind:     by_value
      - .offset:         84
        .size:           4
        .value_kind:     by_value
      - .offset:         88
        .size:           4
        .value_kind:     by_value
    .group_segment_fixed_size: 0
    .kernarg_segment_align: 8
    .kernarg_segment_size: 92
    .language:       OpenCL C
    .language_version:
      - 2
      - 0
    .max_flat_workgroup_size: 1024
    .name:           _ZN9rocsparseL24bsrsm_upper_large_kernelILj1024ELj16ELb0E21rocsparse_complex_numIfEEEviiPKiS4_PKT2_iPS5_iPiS4_S9_21rocsparse_index_base_20rocsparse_diag_type_20rocsparse_direction_
    .private_segment_fixed_size: 0
    .sgpr_count:     46
    .sgpr_spill_count: 0
    .symbol:         _ZN9rocsparseL24bsrsm_upper_large_kernelILj1024ELj16ELb0E21rocsparse_complex_numIfEEEviiPKiS4_PKT2_iPS5_iPiS4_S9_21rocsparse_index_base_20rocsparse_diag_type_20rocsparse_direction_.kd
    .uniform_work_group_size: 1
    .uses_dynamic_stack: false
    .vgpr_count:     18
    .vgpr_spill_count: 0
    .wavefront_size: 64
  - .args:
      - .offset:         0
        .size:           4
        .value_kind:     by_value
      - .offset:         4
        .size:           4
        .value_kind:     by_value
      - .address_space:  global
        .offset:         8
        .size:           8
        .value_kind:     global_buffer
      - .address_space:  global
        .offset:         16
        .size:           8
        .value_kind:     global_buffer
      - .address_space:  global
        .offset:         24
        .size:           8
        .value_kind:     global_buffer
      - .offset:         32
        .size:           4
        .value_kind:     by_value
      - .address_space:  global
        .offset:         40
        .size:           8
        .value_kind:     global_buffer
      - .offset:         48
        .size:           4
        .value_kind:     by_value
      - .address_space:  global
        .offset:         56
        .size:           8
        .value_kind:     global_buffer
      - .address_space:  global
        .offset:         64
        .size:           8
        .value_kind:     global_buffer
      - .address_space:  global
        .offset:         72
        .size:           8
        .value_kind:     global_buffer
      - .offset:         80
        .size:           4
        .value_kind:     by_value
      - .offset:         84
        .size:           4
        .value_kind:     by_value
      - .offset:         88
        .size:           4
        .value_kind:     by_value
    .group_segment_fixed_size: 0
    .kernarg_segment_align: 8
    .kernarg_segment_size: 92
    .language:       OpenCL C
    .language_version:
      - 2
      - 0
    .max_flat_workgroup_size: 1024
    .name:           _ZN9rocsparseL24bsrsm_lower_large_kernelILj1024ELj16ELb0E21rocsparse_complex_numIfEEEviiPKiS4_PKT2_iPS5_iPiS4_S9_21rocsparse_index_base_20rocsparse_diag_type_20rocsparse_direction_
    .private_segment_fixed_size: 0
    .sgpr_count:     46
    .sgpr_spill_count: 0
    .symbol:         _ZN9rocsparseL24bsrsm_lower_large_kernelILj1024ELj16ELb0E21rocsparse_complex_numIfEEEviiPKiS4_PKT2_iPS5_iPiS4_S9_21rocsparse_index_base_20rocsparse_diag_type_20rocsparse_direction_.kd
    .uniform_work_group_size: 1
    .uses_dynamic_stack: false
    .vgpr_count:     18
    .vgpr_spill_count: 0
    .wavefront_size: 64
  - .args:
      - .offset:         0
        .size:           4
        .value_kind:     by_value
      - .offset:         4
        .size:           4
        .value_kind:     by_value
      - .offset:         8
        .size:           16
        .value_kind:     by_value
      - .address_space:  global
        .offset:         24
        .size:           8
        .value_kind:     global_buffer
      - .offset:         32
        .size:           8
        .value_kind:     by_value
      - .address_space:  global
        .offset:         40
        .size:           8
        .value_kind:     global_buffer
      - .offset:         48
        .size:           8
        .value_kind:     by_value
      - .offset:         56
        .size:           1
        .value_kind:     by_value
      - .offset:         64
        .size:           4
        .value_kind:     hidden_block_count_x
      - .offset:         68
        .size:           4
        .value_kind:     hidden_block_count_y
      - .offset:         72
        .size:           4
        .value_kind:     hidden_block_count_z
      - .offset:         76
        .size:           2
        .value_kind:     hidden_group_size_x
      - .offset:         78
        .size:           2
        .value_kind:     hidden_group_size_y
      - .offset:         80
        .size:           2
        .value_kind:     hidden_group_size_z
      - .offset:         82
        .size:           2
        .value_kind:     hidden_remainder_x
      - .offset:         84
        .size:           2
        .value_kind:     hidden_remainder_y
      - .offset:         86
        .size:           2
        .value_kind:     hidden_remainder_z
      - .offset:         104
        .size:           8
        .value_kind:     hidden_global_offset_x
      - .offset:         112
        .size:           8
        .value_kind:     hidden_global_offset_y
      - .offset:         120
        .size:           8
        .value_kind:     hidden_global_offset_z
      - .offset:         128
        .size:           2
        .value_kind:     hidden_grid_dims
    .group_segment_fixed_size: 0
    .kernarg_segment_align: 8
    .kernarg_segment_size: 320
    .language:       OpenCL C
    .language_version:
      - 2
      - 0
    .max_flat_workgroup_size: 1024
    .name:           _ZN9rocsparseL16bsrsm_copy_scaleILj1024E21rocsparse_complex_numIdEEEviiNS_24const_host_device_scalarIT0_EEPKS4_lPS4_lb
    .private_segment_fixed_size: 16
    .sgpr_count:     26
    .sgpr_spill_count: 0
    .symbol:         _ZN9rocsparseL16bsrsm_copy_scaleILj1024E21rocsparse_complex_numIdEEEviiNS_24const_host_device_scalarIT0_EEPKS4_lPS4_lb.kd
    .uniform_work_group_size: 1
    .uses_dynamic_stack: false
    .vgpr_count:     17
    .vgpr_spill_count: 0
    .wavefront_size: 64
  - .args:
      - .offset:         0
        .size:           4
        .value_kind:     by_value
      - .offset:         4
        .size:           4
        .value_kind:     by_value
      - .actual_access:  read_only
        .address_space:  global
        .offset:         8
        .size:           8
        .value_kind:     global_buffer
      - .actual_access:  read_only
        .address_space:  global
        .offset:         16
        .size:           8
        .value_kind:     global_buffer
      - .actual_access:  write_only
        .address_space:  global
        .offset:         24
        .size:           8
        .value_kind:     global_buffer
      - .offset:         32
        .size:           4
        .value_kind:     by_value
    .group_segment_fixed_size: 0
    .kernarg_segment_align: 8
    .kernarg_segment_size: 36
    .language:       OpenCL C
    .language_version:
      - 2
      - 0
    .max_flat_workgroup_size: 256
    .name:           _ZN9rocsparseL10bsr_gatherILj4ELj64ELj2Ei21rocsparse_complex_numIdEEEv20rocsparse_direction_T2_PKS4_PKT3_PS7_S4_
    .private_segment_fixed_size: 0
    .sgpr_count:     22
    .sgpr_spill_count: 0
    .symbol:         _ZN9rocsparseL10bsr_gatherILj4ELj64ELj2Ei21rocsparse_complex_numIdEEEv20rocsparse_direction_T2_PKS4_PKT3_PS7_S4_.kd
    .uniform_work_group_size: 1
    .uses_dynamic_stack: false
    .vgpr_count:     15
    .vgpr_spill_count: 0
    .wavefront_size: 64
  - .args:
      - .offset:         0
        .size:           4
        .value_kind:     by_value
      - .offset:         4
        .size:           4
        .value_kind:     by_value
      - .actual_access:  read_only
        .address_space:  global
        .offset:         8
        .size:           8
        .value_kind:     global_buffer
      - .actual_access:  read_only
        .address_space:  global
        .offset:         16
        .size:           8
        .value_kind:     global_buffer
      - .actual_access:  write_only
        .address_space:  global
        .offset:         24
        .size:           8
        .value_kind:     global_buffer
      - .offset:         32
        .size:           4
        .value_kind:     by_value
    .group_segment_fixed_size: 0
    .kernarg_segment_align: 8
    .kernarg_segment_size: 36
    .language:       OpenCL C
    .language_version:
      - 2
      - 0
    .max_flat_workgroup_size: 256
    .name:           _ZN9rocsparseL10bsr_gatherILj16ELj16ELj4Ei21rocsparse_complex_numIdEEEv20rocsparse_direction_T2_PKS4_PKT3_PS7_S4_
    .private_segment_fixed_size: 0
    .sgpr_count:     22
    .sgpr_spill_count: 0
    .symbol:         _ZN9rocsparseL10bsr_gatherILj16ELj16ELj4Ei21rocsparse_complex_numIdEEEv20rocsparse_direction_T2_PKS4_PKT3_PS7_S4_.kd
    .uniform_work_group_size: 1
    .uses_dynamic_stack: false
    .vgpr_count:     15
    .vgpr_spill_count: 0
    .wavefront_size: 64
  - .args:
      - .offset:         0
        .size:           4
        .value_kind:     by_value
      - .offset:         4
        .size:           4
        .value_kind:     by_value
      - .actual_access:  read_only
        .address_space:  global
        .offset:         8
        .size:           8
        .value_kind:     global_buffer
      - .actual_access:  read_only
        .address_space:  global
        .offset:         16
        .size:           8
        .value_kind:     global_buffer
      - .actual_access:  write_only
        .address_space:  global
        .offset:         24
        .size:           8
        .value_kind:     global_buffer
      - .offset:         32
        .size:           4
        .value_kind:     by_value
    .group_segment_fixed_size: 0
    .kernarg_segment_align: 8
    .kernarg_segment_size: 36
    .language:       OpenCL C
    .language_version:
      - 2
      - 0
    .max_flat_workgroup_size: 256
    .name:           _ZN9rocsparseL10bsr_gatherILj64ELj4ELj8Ei21rocsparse_complex_numIdEEEv20rocsparse_direction_T2_PKS4_PKT3_PS7_S4_
    .private_segment_fixed_size: 0
    .sgpr_count:     22
    .sgpr_spill_count: 0
    .symbol:         _ZN9rocsparseL10bsr_gatherILj64ELj4ELj8Ei21rocsparse_complex_numIdEEEv20rocsparse_direction_T2_PKS4_PKT3_PS7_S4_.kd
    .uniform_work_group_size: 1
    .uses_dynamic_stack: false
    .vgpr_count:     15
    .vgpr_spill_count: 0
    .wavefront_size: 64
  - .args:
      - .offset:         0
        .size:           4
        .value_kind:     by_value
      - .offset:         4
        .size:           4
        .value_kind:     by_value
      - .address_space:  global
        .offset:         8
        .size:           8
        .value_kind:     global_buffer
      - .address_space:  global
        .offset:         16
        .size:           8
        .value_kind:     global_buffer
      - .address_space:  global
        .offset:         24
        .size:           8
        .value_kind:     global_buffer
      - .offset:         32
        .size:           4
        .value_kind:     by_value
      - .address_space:  global
        .offset:         40
        .size:           8
        .value_kind:     global_buffer
      - .offset:         48
        .size:           4
        .value_kind:     by_value
      - .address_space:  global
        .offset:         56
        .size:           8
        .value_kind:     global_buffer
      - .address_space:  global
        .offset:         64
        .size:           8
        .value_kind:     global_buffer
      - .address_space:  global
        .offset:         72
        .size:           8
        .value_kind:     global_buffer
      - .offset:         80
        .size:           4
        .value_kind:     by_value
      - .offset:         84
        .size:           4
        .value_kind:     by_value
      - .offset:         88
        .size:           4
        .value_kind:     by_value
    .group_segment_fixed_size: 0
    .kernarg_segment_align: 8
    .kernarg_segment_size: 92
    .language:       OpenCL C
    .language_version:
      - 2
      - 0
    .max_flat_workgroup_size: 256
    .name:           _ZN9rocsparseL24bsrsm_upper_large_kernelILj256ELj16ELb1E21rocsparse_complex_numIdEEEviiPKiS4_PKT2_iPS5_iPiS4_S9_21rocsparse_index_base_20rocsparse_diag_type_20rocsparse_direction_
    .private_segment_fixed_size: 0
    .sgpr_count:     46
    .sgpr_spill_count: 0
    .symbol:         _ZN9rocsparseL24bsrsm_upper_large_kernelILj256ELj16ELb1E21rocsparse_complex_numIdEEEviiPKiS4_PKT2_iPS5_iPiS4_S9_21rocsparse_index_base_20rocsparse_diag_type_20rocsparse_direction_.kd
    .uniform_work_group_size: 1
    .uses_dynamic_stack: false
    .vgpr_count:     24
    .vgpr_spill_count: 0
    .wavefront_size: 64
  - .args:
      - .offset:         0
        .size:           4
        .value_kind:     by_value
      - .offset:         4
        .size:           4
        .value_kind:     by_value
      - .address_space:  global
        .offset:         8
        .size:           8
        .value_kind:     global_buffer
      - .address_space:  global
        .offset:         16
        .size:           8
        .value_kind:     global_buffer
      - .address_space:  global
        .offset:         24
        .size:           8
        .value_kind:     global_buffer
      - .offset:         32
        .size:           4
        .value_kind:     by_value
      - .address_space:  global
        .offset:         40
        .size:           8
        .value_kind:     global_buffer
      - .offset:         48
        .size:           4
        .value_kind:     by_value
      - .address_space:  global
        .offset:         56
        .size:           8
        .value_kind:     global_buffer
      - .address_space:  global
        .offset:         64
        .size:           8
        .value_kind:     global_buffer
      - .address_space:  global
        .offset:         72
        .size:           8
        .value_kind:     global_buffer
      - .offset:         80
        .size:           4
        .value_kind:     by_value
      - .offset:         84
        .size:           4
        .value_kind:     by_value
      - .offset:         88
        .size:           4
        .value_kind:     by_value
    .group_segment_fixed_size: 0
    .kernarg_segment_align: 8
    .kernarg_segment_size: 92
    .language:       OpenCL C
    .language_version:
      - 2
      - 0
    .max_flat_workgroup_size: 256
    .name:           _ZN9rocsparseL24bsrsm_lower_large_kernelILj256ELj16ELb1E21rocsparse_complex_numIdEEEviiPKiS4_PKT2_iPS5_iPiS4_S9_21rocsparse_index_base_20rocsparse_diag_type_20rocsparse_direction_
    .private_segment_fixed_size: 0
    .sgpr_count:     46
    .sgpr_spill_count: 0
    .symbol:         _ZN9rocsparseL24bsrsm_lower_large_kernelILj256ELj16ELb1E21rocsparse_complex_numIdEEEviiPKiS4_PKT2_iPS5_iPiS4_S9_21rocsparse_index_base_20rocsparse_diag_type_20rocsparse_direction_.kd
    .uniform_work_group_size: 1
    .uses_dynamic_stack: false
    .vgpr_count:     26
    .vgpr_spill_count: 0
    .wavefront_size: 64
  - .args:
      - .offset:         0
        .size:           4
        .value_kind:     by_value
      - .offset:         4
        .size:           4
        .value_kind:     by_value
      - .address_space:  global
        .offset:         8
        .size:           8
        .value_kind:     global_buffer
      - .address_space:  global
        .offset:         16
        .size:           8
        .value_kind:     global_buffer
      - .address_space:  global
        .offset:         24
        .size:           8
        .value_kind:     global_buffer
      - .offset:         32
        .size:           4
        .value_kind:     by_value
      - .address_space:  global
        .offset:         40
        .size:           8
        .value_kind:     global_buffer
      - .offset:         48
        .size:           4
        .value_kind:     by_value
      - .address_space:  global
        .offset:         56
        .size:           8
        .value_kind:     global_buffer
      - .address_space:  global
        .offset:         64
        .size:           8
        .value_kind:     global_buffer
      - .address_space:  global
        .offset:         72
        .size:           8
        .value_kind:     global_buffer
      - .offset:         80
        .size:           4
        .value_kind:     by_value
      - .offset:         84
        .size:           4
        .value_kind:     by_value
      - .offset:         88
        .size:           4
        .value_kind:     by_value
    .group_segment_fixed_size: 0
    .kernarg_segment_align: 8
    .kernarg_segment_size: 92
    .language:       OpenCL C
    .language_version:
      - 2
      - 0
    .max_flat_workgroup_size: 64
    .name:           _ZN9rocsparseL24bsrsm_upper_large_kernelILj64ELj16ELb0E21rocsparse_complex_numIdEEEviiPKiS4_PKT2_iPS5_iPiS4_S9_21rocsparse_index_base_20rocsparse_diag_type_20rocsparse_direction_
    .private_segment_fixed_size: 0
    .sgpr_count:     46
    .sgpr_spill_count: 0
    .symbol:         _ZN9rocsparseL24bsrsm_upper_large_kernelILj64ELj16ELb0E21rocsparse_complex_numIdEEEviiPKiS4_PKT2_iPS5_iPiS4_S9_21rocsparse_index_base_20rocsparse_diag_type_20rocsparse_direction_.kd
    .uniform_work_group_size: 1
    .uses_dynamic_stack: false
    .vgpr_count:     24
    .vgpr_spill_count: 0
    .wavefront_size: 64
  - .args:
      - .offset:         0
        .size:           4
        .value_kind:     by_value
      - .offset:         4
        .size:           4
        .value_kind:     by_value
      - .address_space:  global
        .offset:         8
        .size:           8
        .value_kind:     global_buffer
      - .address_space:  global
        .offset:         16
        .size:           8
        .value_kind:     global_buffer
      - .address_space:  global
        .offset:         24
        .size:           8
        .value_kind:     global_buffer
      - .offset:         32
        .size:           4
        .value_kind:     by_value
      - .address_space:  global
        .offset:         40
        .size:           8
        .value_kind:     global_buffer
      - .offset:         48
        .size:           4
        .value_kind:     by_value
      - .address_space:  global
        .offset:         56
        .size:           8
        .value_kind:     global_buffer
      - .address_space:  global
        .offset:         64
        .size:           8
        .value_kind:     global_buffer
      - .address_space:  global
        .offset:         72
        .size:           8
        .value_kind:     global_buffer
      - .offset:         80
        .size:           4
        .value_kind:     by_value
      - .offset:         84
        .size:           4
        .value_kind:     by_value
      - .offset:         88
        .size:           4
        .value_kind:     by_value
    .group_segment_fixed_size: 0
    .kernarg_segment_align: 8
    .kernarg_segment_size: 92
    .language:       OpenCL C
    .language_version:
      - 2
      - 0
    .max_flat_workgroup_size: 64
    .name:           _ZN9rocsparseL24bsrsm_lower_large_kernelILj64ELj16ELb0E21rocsparse_complex_numIdEEEviiPKiS4_PKT2_iPS5_iPiS4_S9_21rocsparse_index_base_20rocsparse_diag_type_20rocsparse_direction_
    .private_segment_fixed_size: 0
    .sgpr_count:     46
    .sgpr_spill_count: 0
    .symbol:         _ZN9rocsparseL24bsrsm_lower_large_kernelILj64ELj16ELb0E21rocsparse_complex_numIdEEEviiPKiS4_PKT2_iPS5_iPiS4_S9_21rocsparse_index_base_20rocsparse_diag_type_20rocsparse_direction_.kd
    .uniform_work_group_size: 1
    .uses_dynamic_stack: false
    .vgpr_count:     26
    .vgpr_spill_count: 0
    .wavefront_size: 64
  - .args:
      - .offset:         0
        .size:           4
        .value_kind:     by_value
      - .offset:         4
        .size:           4
        .value_kind:     by_value
      - .address_space:  global
        .offset:         8
        .size:           8
        .value_kind:     global_buffer
      - .address_space:  global
        .offset:         16
        .size:           8
        .value_kind:     global_buffer
      - .address_space:  global
        .offset:         24
        .size:           8
        .value_kind:     global_buffer
      - .offset:         32
        .size:           4
        .value_kind:     by_value
      - .address_space:  global
        .offset:         40
        .size:           8
        .value_kind:     global_buffer
      - .offset:         48
        .size:           4
        .value_kind:     by_value
      - .address_space:  global
        .offset:         56
        .size:           8
        .value_kind:     global_buffer
      - .address_space:  global
        .offset:         64
        .size:           8
        .value_kind:     global_buffer
      - .address_space:  global
        .offset:         72
        .size:           8
        .value_kind:     global_buffer
      - .offset:         80
        .size:           4
        .value_kind:     by_value
      - .offset:         84
        .size:           4
        .value_kind:     by_value
      - .offset:         88
        .size:           4
        .value_kind:     by_value
    .group_segment_fixed_size: 0
    .kernarg_segment_align: 8
    .kernarg_segment_size: 92
    .language:       OpenCL C
    .language_version:
      - 2
      - 0
    .max_flat_workgroup_size: 128
    .name:           _ZN9rocsparseL24bsrsm_upper_large_kernelILj128ELj16ELb0E21rocsparse_complex_numIdEEEviiPKiS4_PKT2_iPS5_iPiS4_S9_21rocsparse_index_base_20rocsparse_diag_type_20rocsparse_direction_
    .private_segment_fixed_size: 0
    .sgpr_count:     46
    .sgpr_spill_count: 0
    .symbol:         _ZN9rocsparseL24bsrsm_upper_large_kernelILj128ELj16ELb0E21rocsparse_complex_numIdEEEviiPKiS4_PKT2_iPS5_iPiS4_S9_21rocsparse_index_base_20rocsparse_diag_type_20rocsparse_direction_.kd
    .uniform_work_group_size: 1
    .uses_dynamic_stack: false
    .vgpr_count:     24
    .vgpr_spill_count: 0
    .wavefront_size: 64
  - .args:
      - .offset:         0
        .size:           4
        .value_kind:     by_value
      - .offset:         4
        .size:           4
        .value_kind:     by_value
      - .address_space:  global
        .offset:         8
        .size:           8
        .value_kind:     global_buffer
      - .address_space:  global
        .offset:         16
        .size:           8
        .value_kind:     global_buffer
      - .address_space:  global
        .offset:         24
        .size:           8
        .value_kind:     global_buffer
      - .offset:         32
        .size:           4
        .value_kind:     by_value
      - .address_space:  global
        .offset:         40
        .size:           8
        .value_kind:     global_buffer
      - .offset:         48
        .size:           4
        .value_kind:     by_value
      - .address_space:  global
        .offset:         56
        .size:           8
        .value_kind:     global_buffer
      - .address_space:  global
        .offset:         64
        .size:           8
        .value_kind:     global_buffer
      - .address_space:  global
        .offset:         72
        .size:           8
        .value_kind:     global_buffer
      - .offset:         80
        .size:           4
        .value_kind:     by_value
      - .offset:         84
        .size:           4
        .value_kind:     by_value
      - .offset:         88
        .size:           4
        .value_kind:     by_value
    .group_segment_fixed_size: 0
    .kernarg_segment_align: 8
    .kernarg_segment_size: 92
    .language:       OpenCL C
    .language_version:
      - 2
      - 0
    .max_flat_workgroup_size: 128
    .name:           _ZN9rocsparseL24bsrsm_lower_large_kernelILj128ELj16ELb0E21rocsparse_complex_numIdEEEviiPKiS4_PKT2_iPS5_iPiS4_S9_21rocsparse_index_base_20rocsparse_diag_type_20rocsparse_direction_
    .private_segment_fixed_size: 0
    .sgpr_count:     46
    .sgpr_spill_count: 0
    .symbol:         _ZN9rocsparseL24bsrsm_lower_large_kernelILj128ELj16ELb0E21rocsparse_complex_numIdEEEviiPKiS4_PKT2_iPS5_iPiS4_S9_21rocsparse_index_base_20rocsparse_diag_type_20rocsparse_direction_.kd
    .uniform_work_group_size: 1
    .uses_dynamic_stack: false
    .vgpr_count:     26
    .vgpr_spill_count: 0
    .wavefront_size: 64
  - .args:
      - .offset:         0
        .size:           4
        .value_kind:     by_value
      - .offset:         4
        .size:           4
        .value_kind:     by_value
      - .address_space:  global
        .offset:         8
        .size:           8
        .value_kind:     global_buffer
      - .address_space:  global
        .offset:         16
        .size:           8
        .value_kind:     global_buffer
      - .address_space:  global
        .offset:         24
        .size:           8
        .value_kind:     global_buffer
      - .offset:         32
        .size:           4
        .value_kind:     by_value
      - .address_space:  global
        .offset:         40
        .size:           8
        .value_kind:     global_buffer
      - .offset:         48
        .size:           4
        .value_kind:     by_value
      - .address_space:  global
        .offset:         56
        .size:           8
        .value_kind:     global_buffer
      - .address_space:  global
        .offset:         64
        .size:           8
        .value_kind:     global_buffer
      - .address_space:  global
        .offset:         72
        .size:           8
        .value_kind:     global_buffer
      - .offset:         80
        .size:           4
        .value_kind:     by_value
      - .offset:         84
        .size:           4
        .value_kind:     by_value
      - .offset:         88
        .size:           4
        .value_kind:     by_value
    .group_segment_fixed_size: 0
    .kernarg_segment_align: 8
    .kernarg_segment_size: 92
    .language:       OpenCL C
    .language_version:
      - 2
      - 0
    .max_flat_workgroup_size: 256
    .name:           _ZN9rocsparseL24bsrsm_upper_large_kernelILj256ELj16ELb0E21rocsparse_complex_numIdEEEviiPKiS4_PKT2_iPS5_iPiS4_S9_21rocsparse_index_base_20rocsparse_diag_type_20rocsparse_direction_
    .private_segment_fixed_size: 0
    .sgpr_count:     46
    .sgpr_spill_count: 0
    .symbol:         _ZN9rocsparseL24bsrsm_upper_large_kernelILj256ELj16ELb0E21rocsparse_complex_numIdEEEviiPKiS4_PKT2_iPS5_iPiS4_S9_21rocsparse_index_base_20rocsparse_diag_type_20rocsparse_direction_.kd
    .uniform_work_group_size: 1
    .uses_dynamic_stack: false
    .vgpr_count:     24
    .vgpr_spill_count: 0
    .wavefront_size: 64
  - .args:
      - .offset:         0
        .size:           4
        .value_kind:     by_value
      - .offset:         4
        .size:           4
        .value_kind:     by_value
      - .address_space:  global
        .offset:         8
        .size:           8
        .value_kind:     global_buffer
      - .address_space:  global
        .offset:         16
        .size:           8
        .value_kind:     global_buffer
      - .address_space:  global
        .offset:         24
        .size:           8
        .value_kind:     global_buffer
      - .offset:         32
        .size:           4
        .value_kind:     by_value
      - .address_space:  global
        .offset:         40
        .size:           8
        .value_kind:     global_buffer
      - .offset:         48
        .size:           4
        .value_kind:     by_value
      - .address_space:  global
        .offset:         56
        .size:           8
        .value_kind:     global_buffer
      - .address_space:  global
        .offset:         64
        .size:           8
        .value_kind:     global_buffer
      - .address_space:  global
        .offset:         72
        .size:           8
        .value_kind:     global_buffer
      - .offset:         80
        .size:           4
        .value_kind:     by_value
      - .offset:         84
        .size:           4
        .value_kind:     by_value
      - .offset:         88
        .size:           4
        .value_kind:     by_value
    .group_segment_fixed_size: 0
    .kernarg_segment_align: 8
    .kernarg_segment_size: 92
    .language:       OpenCL C
    .language_version:
      - 2
      - 0
    .max_flat_workgroup_size: 256
    .name:           _ZN9rocsparseL24bsrsm_lower_large_kernelILj256ELj16ELb0E21rocsparse_complex_numIdEEEviiPKiS4_PKT2_iPS5_iPiS4_S9_21rocsparse_index_base_20rocsparse_diag_type_20rocsparse_direction_
    .private_segment_fixed_size: 0
    .sgpr_count:     46
    .sgpr_spill_count: 0
    .symbol:         _ZN9rocsparseL24bsrsm_lower_large_kernelILj256ELj16ELb0E21rocsparse_complex_numIdEEEviiPKiS4_PKT2_iPS5_iPiS4_S9_21rocsparse_index_base_20rocsparse_diag_type_20rocsparse_direction_.kd
    .uniform_work_group_size: 1
    .uses_dynamic_stack: false
    .vgpr_count:     26
    .vgpr_spill_count: 0
    .wavefront_size: 64
  - .args:
      - .offset:         0
        .size:           4
        .value_kind:     by_value
      - .offset:         4
        .size:           4
        .value_kind:     by_value
      - .address_space:  global
        .offset:         8
        .size:           8
        .value_kind:     global_buffer
      - .address_space:  global
        .offset:         16
        .size:           8
        .value_kind:     global_buffer
      - .address_space:  global
        .offset:         24
        .size:           8
        .value_kind:     global_buffer
      - .offset:         32
        .size:           4
        .value_kind:     by_value
      - .address_space:  global
        .offset:         40
        .size:           8
        .value_kind:     global_buffer
      - .offset:         48
        .size:           4
        .value_kind:     by_value
      - .address_space:  global
        .offset:         56
        .size:           8
        .value_kind:     global_buffer
      - .address_space:  global
        .offset:         64
        .size:           8
        .value_kind:     global_buffer
      - .address_space:  global
        .offset:         72
        .size:           8
        .value_kind:     global_buffer
      - .offset:         80
        .size:           4
        .value_kind:     by_value
      - .offset:         84
        .size:           4
        .value_kind:     by_value
      - .offset:         88
        .size:           4
        .value_kind:     by_value
    .group_segment_fixed_size: 0
    .kernarg_segment_align: 8
    .kernarg_segment_size: 92
    .language:       OpenCL C
    .language_version:
      - 2
      - 0
    .max_flat_workgroup_size: 512
    .name:           _ZN9rocsparseL24bsrsm_upper_large_kernelILj512ELj16ELb0E21rocsparse_complex_numIdEEEviiPKiS4_PKT2_iPS5_iPiS4_S9_21rocsparse_index_base_20rocsparse_diag_type_20rocsparse_direction_
    .private_segment_fixed_size: 0
    .sgpr_count:     46
    .sgpr_spill_count: 0
    .symbol:         _ZN9rocsparseL24bsrsm_upper_large_kernelILj512ELj16ELb0E21rocsparse_complex_numIdEEEviiPKiS4_PKT2_iPS5_iPiS4_S9_21rocsparse_index_base_20rocsparse_diag_type_20rocsparse_direction_.kd
    .uniform_work_group_size: 1
    .uses_dynamic_stack: false
    .vgpr_count:     24
    .vgpr_spill_count: 0
    .wavefront_size: 64
  - .args:
      - .offset:         0
        .size:           4
        .value_kind:     by_value
      - .offset:         4
        .size:           4
        .value_kind:     by_value
      - .address_space:  global
        .offset:         8
        .size:           8
        .value_kind:     global_buffer
      - .address_space:  global
        .offset:         16
        .size:           8
        .value_kind:     global_buffer
      - .address_space:  global
        .offset:         24
        .size:           8
        .value_kind:     global_buffer
      - .offset:         32
        .size:           4
        .value_kind:     by_value
      - .address_space:  global
        .offset:         40
        .size:           8
        .value_kind:     global_buffer
      - .offset:         48
        .size:           4
        .value_kind:     by_value
      - .address_space:  global
        .offset:         56
        .size:           8
        .value_kind:     global_buffer
      - .address_space:  global
        .offset:         64
        .size:           8
        .value_kind:     global_buffer
      - .address_space:  global
        .offset:         72
        .size:           8
        .value_kind:     global_buffer
      - .offset:         80
        .size:           4
        .value_kind:     by_value
      - .offset:         84
        .size:           4
        .value_kind:     by_value
      - .offset:         88
        .size:           4
        .value_kind:     by_value
    .group_segment_fixed_size: 0
    .kernarg_segment_align: 8
    .kernarg_segment_size: 92
    .language:       OpenCL C
    .language_version:
      - 2
      - 0
    .max_flat_workgroup_size: 512
    .name:           _ZN9rocsparseL24bsrsm_lower_large_kernelILj512ELj16ELb0E21rocsparse_complex_numIdEEEviiPKiS4_PKT2_iPS5_iPiS4_S9_21rocsparse_index_base_20rocsparse_diag_type_20rocsparse_direction_
    .private_segment_fixed_size: 0
    .sgpr_count:     46
    .sgpr_spill_count: 0
    .symbol:         _ZN9rocsparseL24bsrsm_lower_large_kernelILj512ELj16ELb0E21rocsparse_complex_numIdEEEviiPKiS4_PKT2_iPS5_iPiS4_S9_21rocsparse_index_base_20rocsparse_diag_type_20rocsparse_direction_.kd
    .uniform_work_group_size: 1
    .uses_dynamic_stack: false
    .vgpr_count:     26
    .vgpr_spill_count: 0
    .wavefront_size: 64
  - .args:
      - .offset:         0
        .size:           4
        .value_kind:     by_value
      - .offset:         4
        .size:           4
        .value_kind:     by_value
      - .address_space:  global
        .offset:         8
        .size:           8
        .value_kind:     global_buffer
      - .address_space:  global
        .offset:         16
        .size:           8
        .value_kind:     global_buffer
      - .address_space:  global
        .offset:         24
        .size:           8
        .value_kind:     global_buffer
      - .offset:         32
        .size:           4
        .value_kind:     by_value
      - .address_space:  global
        .offset:         40
        .size:           8
        .value_kind:     global_buffer
      - .offset:         48
        .size:           4
        .value_kind:     by_value
      - .address_space:  global
        .offset:         56
        .size:           8
        .value_kind:     global_buffer
      - .address_space:  global
        .offset:         64
        .size:           8
        .value_kind:     global_buffer
      - .address_space:  global
        .offset:         72
        .size:           8
        .value_kind:     global_buffer
      - .offset:         80
        .size:           4
        .value_kind:     by_value
      - .offset:         84
        .size:           4
        .value_kind:     by_value
      - .offset:         88
        .size:           4
        .value_kind:     by_value
    .group_segment_fixed_size: 0
    .kernarg_segment_align: 8
    .kernarg_segment_size: 92
    .language:       OpenCL C
    .language_version:
      - 2
      - 0
    .max_flat_workgroup_size: 1024
    .name:           _ZN9rocsparseL24bsrsm_upper_large_kernelILj1024ELj16ELb0E21rocsparse_complex_numIdEEEviiPKiS4_PKT2_iPS5_iPiS4_S9_21rocsparse_index_base_20rocsparse_diag_type_20rocsparse_direction_
    .private_segment_fixed_size: 0
    .sgpr_count:     46
    .sgpr_spill_count: 0
    .symbol:         _ZN9rocsparseL24bsrsm_upper_large_kernelILj1024ELj16ELb0E21rocsparse_complex_numIdEEEviiPKiS4_PKT2_iPS5_iPiS4_S9_21rocsparse_index_base_20rocsparse_diag_type_20rocsparse_direction_.kd
    .uniform_work_group_size: 1
    .uses_dynamic_stack: false
    .vgpr_count:     26
    .vgpr_spill_count: 0
    .wavefront_size: 64
  - .args:
      - .offset:         0
        .size:           4
        .value_kind:     by_value
      - .offset:         4
        .size:           4
        .value_kind:     by_value
      - .address_space:  global
        .offset:         8
        .size:           8
        .value_kind:     global_buffer
      - .address_space:  global
        .offset:         16
        .size:           8
        .value_kind:     global_buffer
      - .address_space:  global
        .offset:         24
        .size:           8
        .value_kind:     global_buffer
      - .offset:         32
        .size:           4
        .value_kind:     by_value
      - .address_space:  global
        .offset:         40
        .size:           8
        .value_kind:     global_buffer
      - .offset:         48
        .size:           4
        .value_kind:     by_value
      - .address_space:  global
        .offset:         56
        .size:           8
        .value_kind:     global_buffer
      - .address_space:  global
        .offset:         64
        .size:           8
        .value_kind:     global_buffer
      - .address_space:  global
        .offset:         72
        .size:           8
        .value_kind:     global_buffer
      - .offset:         80
        .size:           4
        .value_kind:     by_value
      - .offset:         84
        .size:           4
        .value_kind:     by_value
      - .offset:         88
        .size:           4
        .value_kind:     by_value
    .group_segment_fixed_size: 0
    .kernarg_segment_align: 8
    .kernarg_segment_size: 92
    .language:       OpenCL C
    .language_version:
      - 2
      - 0
    .max_flat_workgroup_size: 1024
    .name:           _ZN9rocsparseL24bsrsm_lower_large_kernelILj1024ELj16ELb0E21rocsparse_complex_numIdEEEviiPKiS4_PKT2_iPS5_iPiS4_S9_21rocsparse_index_base_20rocsparse_diag_type_20rocsparse_direction_
    .private_segment_fixed_size: 0
    .sgpr_count:     46
    .sgpr_spill_count: 0
    .symbol:         _ZN9rocsparseL24bsrsm_lower_large_kernelILj1024ELj16ELb0E21rocsparse_complex_numIdEEEviiPKiS4_PKT2_iPS5_iPiS4_S9_21rocsparse_index_base_20rocsparse_diag_type_20rocsparse_direction_.kd
    .uniform_work_group_size: 1
    .uses_dynamic_stack: false
    .vgpr_count:     26
    .vgpr_spill_count: 0
    .wavefront_size: 64
amdhsa.target:   amdgcn-amd-amdhsa--gfx906
amdhsa.version:
  - 1
  - 2
...

	.end_amdgpu_metadata
